;; amdgpu-corpus repo=ROCm/rocFFT kind=compiled arch=gfx1201 opt=O3
	.text
	.amdgcn_target "amdgcn-amd-amdhsa--gfx1201"
	.amdhsa_code_object_version 6
	.protected	fft_rtc_fwd_len676_factors_13_13_4_wgs_52_tpt_52_dp_op_CI_CI_unitstride_sbrr_dirReg ; -- Begin function fft_rtc_fwd_len676_factors_13_13_4_wgs_52_tpt_52_dp_op_CI_CI_unitstride_sbrr_dirReg
	.globl	fft_rtc_fwd_len676_factors_13_13_4_wgs_52_tpt_52_dp_op_CI_CI_unitstride_sbrr_dirReg
	.p2align	8
	.type	fft_rtc_fwd_len676_factors_13_13_4_wgs_52_tpt_52_dp_op_CI_CI_unitstride_sbrr_dirReg,@function
fft_rtc_fwd_len676_factors_13_13_4_wgs_52_tpt_52_dp_op_CI_CI_unitstride_sbrr_dirReg: ; @fft_rtc_fwd_len676_factors_13_13_4_wgs_52_tpt_52_dp_op_CI_CI_unitstride_sbrr_dirReg
; %bb.0:
	s_clause 0x2
	s_load_b128 s[4:7], s[0:1], 0x0
	s_load_b128 s[8:11], s[0:1], 0x58
	;; [unrolled: 1-line block ×3, first 2 shown]
	v_mul_u32_u24_e32 v1, 0x4ed, v0
	v_mov_b32_e32 v4, 0
	v_mov_b32_e32 v5, 0
	s_delay_alu instid0(VALU_DEP_3) | instskip(NEXT) | instid1(VALU_DEP_1)
	v_lshrrev_b32_e32 v2, 16, v1
	v_dual_mov_b32 v1, 0 :: v_dual_add_nc_u32 v6, ttmp9, v2
	s_delay_alu instid0(VALU_DEP_1) | instskip(SKIP_2) | instid1(VALU_DEP_1)
	v_mov_b32_e32 v7, v1
	s_wait_kmcnt 0x0
	v_cmp_lt_u64_e64 s2, s[6:7], 2
	s_and_b32 vcc_lo, exec_lo, s2
	s_cbranch_vccnz .LBB0_8
; %bb.1:
	s_load_b64 s[2:3], s[0:1], 0x10
	v_mov_b32_e32 v4, 0
	v_mov_b32_e32 v5, 0
	s_add_nc_u64 s[16:17], s[14:15], 8
	s_add_nc_u64 s[18:19], s[12:13], 8
	s_mov_b64 s[20:21], 1
	s_delay_alu instid0(VALU_DEP_1)
	v_dual_mov_b32 v65, v5 :: v_dual_mov_b32 v64, v4
	s_wait_kmcnt 0x0
	s_add_nc_u64 s[22:23], s[2:3], 8
	s_mov_b32 s3, 0
.LBB0_2:                                ; =>This Inner Loop Header: Depth=1
	s_load_b64 s[24:25], s[22:23], 0x0
                                        ; implicit-def: $vgpr66_vgpr67
	s_mov_b32 s2, exec_lo
	s_wait_kmcnt 0x0
	v_or_b32_e32 v2, s25, v7
	s_delay_alu instid0(VALU_DEP_1)
	v_cmpx_ne_u64_e32 0, v[1:2]
	s_wait_alu 0xfffe
	s_xor_b32 s26, exec_lo, s2
	s_cbranch_execz .LBB0_4
; %bb.3:                                ;   in Loop: Header=BB0_2 Depth=1
	s_cvt_f32_u32 s2, s24
	s_cvt_f32_u32 s27, s25
	s_sub_nc_u64 s[30:31], 0, s[24:25]
	s_wait_alu 0xfffe
	s_delay_alu instid0(SALU_CYCLE_1) | instskip(SKIP_1) | instid1(SALU_CYCLE_2)
	s_fmamk_f32 s2, s27, 0x4f800000, s2
	s_wait_alu 0xfffe
	v_s_rcp_f32 s2, s2
	s_delay_alu instid0(TRANS32_DEP_1) | instskip(SKIP_1) | instid1(SALU_CYCLE_2)
	s_mul_f32 s2, s2, 0x5f7ffffc
	s_wait_alu 0xfffe
	s_mul_f32 s27, s2, 0x2f800000
	s_wait_alu 0xfffe
	s_delay_alu instid0(SALU_CYCLE_2) | instskip(SKIP_1) | instid1(SALU_CYCLE_2)
	s_trunc_f32 s27, s27
	s_wait_alu 0xfffe
	s_fmamk_f32 s2, s27, 0xcf800000, s2
	s_cvt_u32_f32 s29, s27
	s_wait_alu 0xfffe
	s_delay_alu instid0(SALU_CYCLE_1) | instskip(SKIP_1) | instid1(SALU_CYCLE_2)
	s_cvt_u32_f32 s28, s2
	s_wait_alu 0xfffe
	s_mul_u64 s[34:35], s[30:31], s[28:29]
	s_wait_alu 0xfffe
	s_mul_hi_u32 s37, s28, s35
	s_mul_i32 s36, s28, s35
	s_mul_hi_u32 s2, s28, s34
	s_mul_i32 s33, s29, s34
	s_wait_alu 0xfffe
	s_add_nc_u64 s[36:37], s[2:3], s[36:37]
	s_mul_hi_u32 s27, s29, s34
	s_mul_hi_u32 s38, s29, s35
	s_add_co_u32 s2, s36, s33
	s_wait_alu 0xfffe
	s_add_co_ci_u32 s2, s37, s27
	s_mul_i32 s34, s29, s35
	s_add_co_ci_u32 s35, s38, 0
	s_wait_alu 0xfffe
	s_add_nc_u64 s[34:35], s[2:3], s[34:35]
	s_wait_alu 0xfffe
	v_add_co_u32 v2, s2, s28, s34
	s_delay_alu instid0(VALU_DEP_1) | instskip(SKIP_1) | instid1(VALU_DEP_1)
	s_cmp_lg_u32 s2, 0
	s_add_co_ci_u32 s29, s29, s35
	v_readfirstlane_b32 s28, v2
	s_wait_alu 0xfffe
	s_delay_alu instid0(VALU_DEP_1)
	s_mul_u64 s[30:31], s[30:31], s[28:29]
	s_wait_alu 0xfffe
	s_mul_hi_u32 s35, s28, s31
	s_mul_i32 s34, s28, s31
	s_mul_hi_u32 s2, s28, s30
	s_mul_i32 s33, s29, s30
	s_wait_alu 0xfffe
	s_add_nc_u64 s[34:35], s[2:3], s[34:35]
	s_mul_hi_u32 s27, s29, s30
	s_mul_hi_u32 s28, s29, s31
	s_wait_alu 0xfffe
	s_add_co_u32 s2, s34, s33
	s_add_co_ci_u32 s2, s35, s27
	s_mul_i32 s30, s29, s31
	s_add_co_ci_u32 s31, s28, 0
	s_wait_alu 0xfffe
	s_add_nc_u64 s[30:31], s[2:3], s[30:31]
	s_wait_alu 0xfffe
	v_add_co_u32 v8, s2, v2, s30
	s_delay_alu instid0(VALU_DEP_1) | instskip(SKIP_1) | instid1(VALU_DEP_1)
	s_cmp_lg_u32 s2, 0
	s_add_co_ci_u32 s2, s29, s31
	v_mul_hi_u32 v12, v6, v8
	s_wait_alu 0xfffe
	v_mad_co_u64_u32 v[2:3], null, v6, s2, 0
	v_mad_co_u64_u32 v[8:9], null, v7, v8, 0
	;; [unrolled: 1-line block ×3, first 2 shown]
	s_delay_alu instid0(VALU_DEP_3) | instskip(SKIP_1) | instid1(VALU_DEP_4)
	v_add_co_u32 v2, vcc_lo, v12, v2
	s_wait_alu 0xfffd
	v_add_co_ci_u32_e32 v3, vcc_lo, 0, v3, vcc_lo
	s_delay_alu instid0(VALU_DEP_2) | instskip(SKIP_1) | instid1(VALU_DEP_2)
	v_add_co_u32 v2, vcc_lo, v2, v8
	s_wait_alu 0xfffd
	v_add_co_ci_u32_e32 v2, vcc_lo, v3, v9, vcc_lo
	s_wait_alu 0xfffd
	v_add_co_ci_u32_e32 v3, vcc_lo, 0, v11, vcc_lo
	s_delay_alu instid0(VALU_DEP_2) | instskip(SKIP_1) | instid1(VALU_DEP_2)
	v_add_co_u32 v8, vcc_lo, v2, v10
	s_wait_alu 0xfffd
	v_add_co_ci_u32_e32 v9, vcc_lo, 0, v3, vcc_lo
	s_delay_alu instid0(VALU_DEP_2) | instskip(SKIP_1) | instid1(VALU_DEP_3)
	v_mul_lo_u32 v10, s25, v8
	v_mad_co_u64_u32 v[2:3], null, s24, v8, 0
	v_mul_lo_u32 v11, s24, v9
	s_delay_alu instid0(VALU_DEP_2) | instskip(NEXT) | instid1(VALU_DEP_2)
	v_sub_co_u32 v2, vcc_lo, v6, v2
	v_add3_u32 v3, v3, v11, v10
	s_delay_alu instid0(VALU_DEP_1) | instskip(SKIP_1) | instid1(VALU_DEP_1)
	v_sub_nc_u32_e32 v10, v7, v3
	s_wait_alu 0xfffd
	v_subrev_co_ci_u32_e64 v10, s2, s25, v10, vcc_lo
	v_add_co_u32 v11, s2, v8, 2
	s_wait_alu 0xf1ff
	v_add_co_ci_u32_e64 v12, s2, 0, v9, s2
	v_sub_co_u32 v13, s2, v2, s24
	v_sub_co_ci_u32_e32 v3, vcc_lo, v7, v3, vcc_lo
	s_wait_alu 0xf1ff
	v_subrev_co_ci_u32_e64 v10, s2, 0, v10, s2
	s_delay_alu instid0(VALU_DEP_3) | instskip(NEXT) | instid1(VALU_DEP_3)
	v_cmp_le_u32_e32 vcc_lo, s24, v13
	v_cmp_eq_u32_e64 s2, s25, v3
	s_wait_alu 0xfffd
	v_cndmask_b32_e64 v13, 0, -1, vcc_lo
	v_cmp_le_u32_e32 vcc_lo, s25, v10
	s_wait_alu 0xfffd
	v_cndmask_b32_e64 v14, 0, -1, vcc_lo
	v_cmp_le_u32_e32 vcc_lo, s24, v2
	;; [unrolled: 3-line block ×3, first 2 shown]
	s_wait_alu 0xfffd
	v_cndmask_b32_e64 v15, 0, -1, vcc_lo
	v_cmp_eq_u32_e32 vcc_lo, s25, v10
	s_wait_alu 0xf1ff
	s_delay_alu instid0(VALU_DEP_2)
	v_cndmask_b32_e64 v2, v15, v2, s2
	s_wait_alu 0xfffd
	v_cndmask_b32_e32 v10, v14, v13, vcc_lo
	v_add_co_u32 v13, vcc_lo, v8, 1
	s_wait_alu 0xfffd
	v_add_co_ci_u32_e32 v14, vcc_lo, 0, v9, vcc_lo
	s_delay_alu instid0(VALU_DEP_3) | instskip(SKIP_1) | instid1(VALU_DEP_2)
	v_cmp_ne_u32_e32 vcc_lo, 0, v10
	s_wait_alu 0xfffd
	v_dual_cndmask_b32 v3, v14, v12 :: v_dual_cndmask_b32 v10, v13, v11
	v_cmp_ne_u32_e32 vcc_lo, 0, v2
	s_wait_alu 0xfffd
	s_delay_alu instid0(VALU_DEP_2)
	v_dual_cndmask_b32 v67, v9, v3 :: v_dual_cndmask_b32 v66, v8, v10
.LBB0_4:                                ;   in Loop: Header=BB0_2 Depth=1
	s_wait_alu 0xfffe
	s_and_not1_saveexec_b32 s2, s26
	s_cbranch_execz .LBB0_6
; %bb.5:                                ;   in Loop: Header=BB0_2 Depth=1
	v_cvt_f32_u32_e32 v2, s24
	s_sub_co_i32 s26, 0, s24
	v_mov_b32_e32 v67, v1
	s_delay_alu instid0(VALU_DEP_2) | instskip(NEXT) | instid1(TRANS32_DEP_1)
	v_rcp_iflag_f32_e32 v2, v2
	v_mul_f32_e32 v2, 0x4f7ffffe, v2
	s_delay_alu instid0(VALU_DEP_1) | instskip(SKIP_1) | instid1(VALU_DEP_1)
	v_cvt_u32_f32_e32 v2, v2
	s_wait_alu 0xfffe
	v_mul_lo_u32 v3, s26, v2
	s_delay_alu instid0(VALU_DEP_1) | instskip(NEXT) | instid1(VALU_DEP_1)
	v_mul_hi_u32 v3, v2, v3
	v_add_nc_u32_e32 v2, v2, v3
	s_delay_alu instid0(VALU_DEP_1) | instskip(NEXT) | instid1(VALU_DEP_1)
	v_mul_hi_u32 v2, v6, v2
	v_mul_lo_u32 v3, v2, s24
	v_add_nc_u32_e32 v8, 1, v2
	s_delay_alu instid0(VALU_DEP_2) | instskip(NEXT) | instid1(VALU_DEP_1)
	v_sub_nc_u32_e32 v3, v6, v3
	v_subrev_nc_u32_e32 v9, s24, v3
	v_cmp_le_u32_e32 vcc_lo, s24, v3
	s_wait_alu 0xfffd
	s_delay_alu instid0(VALU_DEP_2) | instskip(NEXT) | instid1(VALU_DEP_1)
	v_dual_cndmask_b32 v3, v3, v9 :: v_dual_cndmask_b32 v2, v2, v8
	v_cmp_le_u32_e32 vcc_lo, s24, v3
	s_delay_alu instid0(VALU_DEP_2) | instskip(SKIP_1) | instid1(VALU_DEP_1)
	v_add_nc_u32_e32 v8, 1, v2
	s_wait_alu 0xfffd
	v_cndmask_b32_e32 v66, v2, v8, vcc_lo
.LBB0_6:                                ;   in Loop: Header=BB0_2 Depth=1
	s_wait_alu 0xfffe
	s_or_b32 exec_lo, exec_lo, s2
	v_mul_lo_u32 v8, v67, s24
	s_delay_alu instid0(VALU_DEP_2)
	v_mul_lo_u32 v9, v66, s25
	s_load_b64 s[26:27], s[18:19], 0x0
	v_mad_co_u64_u32 v[2:3], null, v66, s24, 0
	s_load_b64 s[24:25], s[16:17], 0x0
	s_add_nc_u64 s[20:21], s[20:21], 1
	s_add_nc_u64 s[16:17], s[16:17], 8
	s_wait_alu 0xfffe
	v_cmp_ge_u64_e64 s2, s[20:21], s[6:7]
	s_add_nc_u64 s[18:19], s[18:19], 8
	s_add_nc_u64 s[22:23], s[22:23], 8
	v_add3_u32 v3, v3, v9, v8
	v_sub_co_u32 v2, vcc_lo, v6, v2
	s_wait_alu 0xfffd
	s_delay_alu instid0(VALU_DEP_2) | instskip(SKIP_2) | instid1(VALU_DEP_1)
	v_sub_co_ci_u32_e32 v3, vcc_lo, v7, v3, vcc_lo
	s_and_b32 vcc_lo, exec_lo, s2
	s_wait_kmcnt 0x0
	v_mul_lo_u32 v6, s26, v3
	v_mul_lo_u32 v7, s27, v2
	v_mad_co_u64_u32 v[4:5], null, s26, v2, v[4:5]
	v_mul_lo_u32 v3, s24, v3
	v_mul_lo_u32 v8, s25, v2
	v_mad_co_u64_u32 v[64:65], null, s24, v2, v[64:65]
	s_delay_alu instid0(VALU_DEP_4) | instskip(NEXT) | instid1(VALU_DEP_2)
	v_add3_u32 v5, v7, v5, v6
	v_add3_u32 v65, v8, v65, v3
	s_wait_alu 0xfffe
	s_cbranch_vccnz .LBB0_9
; %bb.7:                                ;   in Loop: Header=BB0_2 Depth=1
	v_dual_mov_b32 v6, v66 :: v_dual_mov_b32 v7, v67
	s_branch .LBB0_2
.LBB0_8:
	v_dual_mov_b32 v65, v5 :: v_dual_mov_b32 v64, v4
	v_dual_mov_b32 v67, v7 :: v_dual_mov_b32 v66, v6
.LBB0_9:
	s_load_b64 s[0:1], s[0:1], 0x28
	v_mul_hi_u32 v1, 0x4ec4ec5, v0
	s_lshl_b64 s[6:7], s[6:7], 3
                                        ; implicit-def: $vgpr100
	s_wait_kmcnt 0x0
	v_cmp_gt_u64_e32 vcc_lo, s[0:1], v[66:67]
	v_cmp_le_u64_e64 s0, s[0:1], v[66:67]
	s_delay_alu instid0(VALU_DEP_1)
	s_and_saveexec_b32 s1, s0
	s_wait_alu 0xfffe
	s_xor_b32 s0, exec_lo, s1
; %bb.10:
	v_mul_u32_u24_e32 v1, 52, v1
                                        ; implicit-def: $vgpr4_vgpr5
	s_delay_alu instid0(VALU_DEP_1)
	v_sub_nc_u32_e32 v100, v0, v1
                                        ; implicit-def: $vgpr1
                                        ; implicit-def: $vgpr0
; %bb.11:
	s_wait_alu 0xfffe
	s_or_saveexec_b32 s1, s0
	s_add_nc_u64 s[2:3], s[14:15], s[6:7]
                                        ; implicit-def: $vgpr6_vgpr7
                                        ; implicit-def: $vgpr10_vgpr11
                                        ; implicit-def: $vgpr38_vgpr39
                                        ; implicit-def: $vgpr50_vgpr51
                                        ; implicit-def: $vgpr34_vgpr35
                                        ; implicit-def: $vgpr22_vgpr23
                                        ; implicit-def: $vgpr14_vgpr15
                                        ; implicit-def: $vgpr18_vgpr19
                                        ; implicit-def: $vgpr42_vgpr43
                                        ; implicit-def: $vgpr46_vgpr47
                                        ; implicit-def: $vgpr30_vgpr31
                                        ; implicit-def: $vgpr26_vgpr27
                                        ; implicit-def: $vgpr2_vgpr3
	s_wait_alu 0xfffe
	s_xor_b32 exec_lo, exec_lo, s1
	s_cbranch_execz .LBB0_13
; %bb.12:
	s_add_nc_u64 s[6:7], s[12:13], s[6:7]
	s_load_b64 s[6:7], s[6:7], 0x0
	s_wait_kmcnt 0x0
	v_mul_lo_u32 v6, s7, v66
	v_mul_lo_u32 v7, s6, v67
	v_mad_co_u64_u32 v[2:3], null, s6, v66, 0
	s_delay_alu instid0(VALU_DEP_1) | instskip(SKIP_1) | instid1(VALU_DEP_2)
	v_add3_u32 v3, v3, v7, v6
	v_mul_u32_u24_e32 v6, 52, v1
	v_lshlrev_b64_e32 v[1:2], 4, v[2:3]
	v_lshlrev_b64_e32 v[3:4], 4, v[4:5]
	s_delay_alu instid0(VALU_DEP_3) | instskip(NEXT) | instid1(VALU_DEP_3)
	v_sub_nc_u32_e32 v100, v0, v6
	v_add_co_u32 v0, s0, s8, v1
	s_wait_alu 0xf1ff
	s_delay_alu instid0(VALU_DEP_4) | instskip(NEXT) | instid1(VALU_DEP_3)
	v_add_co_ci_u32_e64 v1, s0, s9, v2, s0
	v_lshlrev_b32_e32 v2, 4, v100
	s_delay_alu instid0(VALU_DEP_3) | instskip(SKIP_1) | instid1(VALU_DEP_3)
	v_add_co_u32 v0, s0, v0, v3
	s_wait_alu 0xf1ff
	v_add_co_ci_u32_e64 v1, s0, v1, v4, s0
	s_delay_alu instid0(VALU_DEP_2) | instskip(SKIP_1) | instid1(VALU_DEP_2)
	v_add_co_u32 v12, s0, v0, v2
	s_wait_alu 0xf1ff
	v_add_co_ci_u32_e64 v13, s0, 0, v1, s0
	s_clause 0xc
	global_load_b128 v[0:3], v[12:13], off
	global_load_b128 v[4:7], v[12:13], off offset:832
	global_load_b128 v[8:11], v[12:13], off offset:1664
	;; [unrolled: 1-line block ×12, first 2 shown]
.LBB0_13:
	s_or_b32 exec_lo, exec_lo, s1
	s_wait_loadcnt 0xb
	v_add_f64_e32 v[52:53], v[4:5], v[0:1]
	v_add_f64_e32 v[54:55], v[6:7], v[2:3]
	s_wait_loadcnt 0x5
	v_add_f64_e64 v[56:57], v[48:49], -v[44:45]
	s_wait_loadcnt 0x1
	v_add_f64_e32 v[62:63], v[10:11], v[18:19]
	v_add_f64_e64 v[68:69], v[8:9], -v[16:17]
	v_add_f64_e64 v[76:77], v[10:11], -v[18:19]
	s_mov_b32 s16, 0xe00740e9
	s_mov_b32 s14, 0x1ea71119
	;; [unrolled: 1-line block ×30, first 2 shown]
	s_wait_alu 0xfffe
	s_mov_b32 s42, s24
	s_mov_b32 s28, s22
	v_add_f64_e32 v[52:53], v[8:9], v[52:53]
	v_add_f64_e32 v[54:55], v[10:11], v[54:55]
	s_mov_b32 s34, s18
	s_mov_b32 s20, s38
	;; [unrolled: 1-line block ×4, first 2 shown]
	s_wait_alu 0xfffe
	v_mul_f64_e32 v[115:116], s[28:29], v[68:69]
	v_mul_f64_e32 v[131:132], s[40:41], v[56:57]
	;; [unrolled: 1-line block ×4, first 2 shown]
	v_add_f64_e32 v[52:53], v[24:25], v[52:53]
	v_add_f64_e32 v[54:55], v[26:27], v[54:55]
	s_delay_alu instid0(VALU_DEP_2) | instskip(NEXT) | instid1(VALU_DEP_2)
	v_add_f64_e32 v[52:53], v[28:29], v[52:53]
	v_add_f64_e32 v[54:55], v[30:31], v[54:55]
	s_delay_alu instid0(VALU_DEP_2) | instskip(NEXT) | instid1(VALU_DEP_2)
	;; [unrolled: 3-line block ×3, first 2 shown]
	v_add_f64_e32 v[58:59], v[48:49], v[52:53]
	v_add_f64_e32 v[60:61], v[50:51], v[54:55]
	;; [unrolled: 1-line block ×4, first 2 shown]
	v_add_f64_e64 v[48:49], v[50:51], -v[46:47]
	v_add_f64_e32 v[50:51], v[36:37], v[40:41]
	v_add_f64_e32 v[58:59], v[44:45], v[58:59]
	;; [unrolled: 1-line block ×4, first 2 shown]
	v_add_f64_e64 v[46:47], v[36:37], -v[40:41]
	v_add_f64_e64 v[36:37], v[38:39], -v[42:43]
	v_add_f64_e32 v[38:39], v[34:35], v[30:31]
	v_mul_f64_e32 v[125:126], s[6:7], v[50:51]
	v_mul_f64_e32 v[129:130], s[0:1], v[54:55]
	;; [unrolled: 1-line block ×6, first 2 shown]
	v_add_f64_e32 v[58:59], v[40:41], v[58:59]
	v_add_f64_e32 v[60:61], v[42:43], v[60:61]
	v_add_f64_e32 v[42:43], v[32:33], v[28:29]
	v_add_f64_e64 v[40:41], v[28:29], -v[32:33]
	v_add_f64_e64 v[28:29], v[30:31], -v[34:35]
	;; [unrolled: 1-line block ×3, first 2 shown]
	v_mul_f64_e32 v[127:128], s[26:27], v[46:47]
	v_mul_f64_e32 v[141:142], s[28:29], v[46:47]
	;; [unrolled: 1-line block ×3, first 2 shown]
	v_add_f64_e32 v[58:59], v[32:33], v[58:59]
	v_add_f64_e32 v[34:35], v[34:35], v[60:61]
	;; [unrolled: 1-line block ×4, first 2 shown]
	v_add_f64_e64 v[26:27], v[26:27], -v[22:23]
	v_mul_f64_e32 v[119:120], s[34:35], v[30:31]
	v_mul_f64_e32 v[121:122], s[8:9], v[42:43]
	;; [unrolled: 1-line block ×6, first 2 shown]
	v_add_f64_e32 v[20:21], v[20:21], v[58:59]
	v_add_f64_e32 v[22:23], v[22:23], v[34:35]
	;; [unrolled: 1-line block ×3, first 2 shown]
	v_mul_f64_e32 v[117:118], s[12:13], v[32:33]
	s_delay_alu instid0(VALU_DEP_4) | instskip(NEXT) | instid1(VALU_DEP_4)
	v_add_f64_e32 v[8:9], v[16:17], v[20:21]
	v_add_f64_e32 v[10:11], v[18:19], v[22:23]
	s_wait_loadcnt 0x0
	v_add_f64_e32 v[16:17], v[4:5], v[12:13]
	v_add_f64_e64 v[18:19], v[4:5], -v[12:13]
	v_add_f64_e32 v[20:21], v[6:7], v[14:15]
	v_add_f64_e64 v[22:23], v[6:7], -v[14:15]
	v_mul_f64_e32 v[113:114], s[14:15], v[34:35]
	v_mul_f64_e32 v[161:162], s[12:13], v[34:35]
	v_add_f64_e32 v[4:5], v[12:13], v[8:9]
	v_add_f64_e32 v[6:7], v[14:15], v[10:11]
	v_mul_f64_e32 v[8:9], s[16:17], v[16:17]
	v_mul_f64_e32 v[10:11], s[14:15], v[16:17]
	;; [unrolled: 1-line block ×10, first 2 shown]
	v_fma_f64 v[60:61], v[22:23], s[24:25], v[8:9]
	v_fma_f64 v[8:9], v[22:23], s[42:43], v[8:9]
	;; [unrolled: 1-line block ×12, first 2 shown]
	v_mul_f64_e32 v[22:23], s[42:43], v[18:19]
	v_mul_f64_e32 v[18:19], s[40:41], v[18:19]
	v_fma_f64 v[92:93], v[20:21], s[14:15], v[82:83]
	v_fma_f64 v[94:95], v[20:21], s[12:13], v[84:85]
	v_fma_f64 v[82:83], v[20:21], s[14:15], -v[82:83]
	v_fma_f64 v[84:85], v[20:21], s[12:13], -v[84:85]
	v_fma_f64 v[96:97], v[20:21], s[8:9], v[86:87]
	v_fma_f64 v[86:87], v[20:21], s[8:9], -v[86:87]
	v_fma_f64 v[98:99], v[20:21], s[6:7], v[88:89]
	v_fma_f64 v[88:89], v[20:21], s[6:7], -v[88:89]
	v_add_f64_e32 v[72:73], v[72:73], v[0:1]
	v_add_f64_e32 v[74:75], v[74:75], v[0:1]
	;; [unrolled: 1-line block ×7, first 2 shown]
	v_fma_f64 v[90:91], v[20:21], s[16:17], v[22:23]
	v_fma_f64 v[22:23], v[20:21], s[16:17], -v[22:23]
	v_fma_f64 v[101:102], v[20:21], s[0:1], v[18:19]
	v_fma_f64 v[18:19], v[20:21], s[0:1], -v[18:19]
	v_add_f64_e32 v[20:21], v[60:61], v[0:1]
	v_add_f64_e32 v[82:83], v[82:83], v[2:3]
	;; [unrolled: 1-line block ×7, first 2 shown]
	v_mul_f64_e32 v[16:17], s[0:1], v[32:33]
	v_mul_f64_e32 v[14:15], s[20:21], v[68:69]
	v_add_f64_e32 v[60:61], v[90:91], v[2:3]
	v_add_f64_e32 v[90:91], v[8:9], v[0:1]
	;; [unrolled: 1-line block ×8, first 2 shown]
	v_fma_f64 v[0:1], v[76:77], s[22:23], v[113:114]
	v_add_f64_e32 v[101:102], v[101:102], v[2:3]
	v_add_f64_e32 v[111:112], v[18:19], v[2:3]
	v_fma_f64 v[2:3], v[62:63], s[14:15], v[115:116]
	v_fma_f64 v[10:11], v[26:27], s[18:19], v[117:118]
	v_mul_f64_e32 v[12:13], s[8:9], v[34:35]
	v_fma_f64 v[18:19], v[26:27], s[30:31], v[16:17]
	v_fma_f64 v[16:17], v[26:27], s[40:41], v[16:17]
	v_add_f64_e32 v[0:1], v[0:1], v[20:21]
	v_add_f64_e32 v[2:3], v[2:3], v[60:61]
	s_delay_alu instid0(VALU_DEP_2) | instskip(SKIP_1) | instid1(VALU_DEP_1)
	v_add_f64_e32 v[0:1], v[10:11], v[0:1]
	v_fma_f64 v[10:11], v[24:25], s[12:13], v[119:120]
	v_add_f64_e32 v[2:3], v[10:11], v[2:3]
	v_fma_f64 v[10:11], v[28:29], s[38:39], v[121:122]
	s_delay_alu instid0(VALU_DEP_1) | instskip(SKIP_1) | instid1(VALU_DEP_1)
	v_add_f64_e32 v[0:1], v[10:11], v[0:1]
	v_fma_f64 v[10:11], v[38:39], s[8:9], v[123:124]
	v_add_f64_e32 v[2:3], v[10:11], v[2:3]
	v_fma_f64 v[10:11], v[36:37], s[36:37], v[125:126]
	s_delay_alu instid0(VALU_DEP_1) | instskip(SKIP_1) | instid1(VALU_DEP_1)
	;; [unrolled: 5-line block ×3, first 2 shown]
	v_add_f64_e32 v[0:1], v[10:11], v[0:1]
	v_fma_f64 v[10:11], v[52:53], s[0:1], v[131:132]
	v_add_f64_e32 v[2:3], v[10:11], v[2:3]
	v_fma_f64 v[10:11], v[76:77], s[38:39], v[12:13]
	v_fma_f64 v[12:13], v[76:77], s[20:21], v[12:13]
	s_delay_alu instid0(VALU_DEP_2) | instskip(SKIP_1) | instid1(VALU_DEP_3)
	v_add_f64_e32 v[8:9], v[10:11], v[8:9]
	v_fma_f64 v[10:11], v[62:63], s[8:9], v[14:15]
	v_add_f64_e32 v[12:13], v[12:13], v[70:71]
	v_fma_f64 v[14:15], v[62:63], s[8:9], -v[14:15]
	v_mul_f64_e32 v[70:71], s[6:7], v[34:35]
	v_add_f64_e32 v[8:9], v[18:19], v[8:9]
	v_mul_f64_e32 v[18:19], s[40:41], v[30:31]
	v_add_f64_e32 v[10:11], v[10:11], v[22:23]
	v_add_f64_e32 v[14:15], v[14:15], v[82:83]
	;; [unrolled: 1-line block ×3, first 2 shown]
	v_mul_f64_e32 v[82:83], s[0:1], v[34:35]
	v_mul_f64_e32 v[34:35], s[16:17], v[34:35]
	v_fma_f64 v[20:21], v[24:25], s[0:1], v[18:19]
	v_fma_f64 v[16:17], v[24:25], s[0:1], -v[18:19]
	s_delay_alu instid0(VALU_DEP_2) | instskip(SKIP_1) | instid1(VALU_DEP_3)
	v_add_f64_e32 v[10:11], v[20:21], v[10:11]
	v_mul_f64_e32 v[20:21], s[6:7], v[42:43]
	v_add_f64_e32 v[14:15], v[16:17], v[14:15]
	s_delay_alu instid0(VALU_DEP_2) | instskip(SKIP_1) | instid1(VALU_DEP_2)
	v_fma_f64 v[22:23], v[28:29], s[26:27], v[20:21]
	v_fma_f64 v[16:17], v[28:29], s[36:37], v[20:21]
	v_add_f64_e32 v[8:9], v[22:23], v[8:9]
	v_mul_f64_e32 v[22:23], s[36:37], v[40:41]
	s_delay_alu instid0(VALU_DEP_3) | instskip(NEXT) | instid1(VALU_DEP_2)
	v_add_f64_e32 v[12:13], v[16:17], v[12:13]
	v_fma_f64 v[58:59], v[38:39], s[6:7], v[22:23]
	v_fma_f64 v[16:17], v[38:39], s[6:7], -v[22:23]
	s_delay_alu instid0(VALU_DEP_2) | instskip(SKIP_1) | instid1(VALU_DEP_3)
	v_add_f64_e32 v[10:11], v[58:59], v[10:11]
	v_mul_f64_e32 v[58:59], s[12:13], v[50:51]
	v_add_f64_e32 v[14:15], v[16:17], v[14:15]
	s_delay_alu instid0(VALU_DEP_2) | instskip(SKIP_1) | instid1(VALU_DEP_2)
	v_fma_f64 v[60:61], v[36:37], s[34:35], v[58:59]
	v_fma_f64 v[16:17], v[36:37], s[18:19], v[58:59]
	v_add_f64_e32 v[8:9], v[60:61], v[8:9]
	v_mul_f64_e32 v[60:61], s[18:19], v[46:47]
	s_delay_alu instid0(VALU_DEP_3) | instskip(NEXT) | instid1(VALU_DEP_2)
	v_add_f64_e32 v[12:13], v[16:17], v[12:13]
	v_fma_f64 v[133:134], v[44:45], s[12:13], v[60:61]
	v_fma_f64 v[16:17], v[44:45], s[12:13], -v[60:61]
	s_delay_alu instid0(VALU_DEP_2) | instskip(SKIP_1) | instid1(VALU_DEP_3)
	v_add_f64_e32 v[10:11], v[133:134], v[10:11]
	v_mul_f64_e32 v[133:134], s[16:17], v[54:55]
	v_add_f64_e32 v[14:15], v[16:17], v[14:15]
	s_delay_alu instid0(VALU_DEP_2) | instskip(SKIP_2) | instid1(VALU_DEP_3)
	v_fma_f64 v[135:136], v[48:49], s[42:43], v[133:134]
	v_fma_f64 v[16:17], v[48:49], s[24:25], v[133:134]
	v_mul_f64_e32 v[133:134], s[38:39], v[30:31]
	v_add_f64_e32 v[8:9], v[135:136], v[8:9]
	v_mul_f64_e32 v[135:136], s[24:25], v[56:57]
	s_delay_alu instid0(VALU_DEP_4) | instskip(SKIP_1) | instid1(VALU_DEP_3)
	v_add_f64_e32 v[12:13], v[16:17], v[12:13]
	v_fma_f64 v[16:17], v[76:77], s[30:31], v[82:83]
	v_fma_f64 v[18:19], v[52:53], s[16:17], -v[135:136]
	v_fma_f64 v[137:138], v[52:53], s[16:17], v[135:136]
	s_delay_alu instid0(VALU_DEP_3)
	v_add_f64_e32 v[16:17], v[16:17], v[72:73]
	v_mul_f64_e32 v[72:73], s[40:41], v[68:69]
	v_mul_f64_e32 v[135:136], s[16:17], v[42:43]
	v_add_f64_e32 v[14:15], v[18:19], v[14:15]
	v_add_f64_e32 v[10:11], v[137:138], v[10:11]
	v_mul_f64_e32 v[137:138], s[24:25], v[40:41]
	v_fma_f64 v[18:19], v[62:63], s[0:1], v[72:73]
	s_delay_alu instid0(VALU_DEP_1) | instskip(SKIP_1) | instid1(VALU_DEP_1)
	v_add_f64_e32 v[18:19], v[18:19], v[92:93]
	v_mul_f64_e32 v[92:93], s[8:9], v[32:33]
	v_fma_f64 v[20:21], v[26:27], s[20:21], v[92:93]
	s_delay_alu instid0(VALU_DEP_1) | instskip(SKIP_1) | instid1(VALU_DEP_1)
	v_add_f64_e32 v[16:17], v[20:21], v[16:17]
	v_fma_f64 v[20:21], v[24:25], s[8:9], v[133:134]
	v_add_f64_e32 v[18:19], v[20:21], v[18:19]
	v_fma_f64 v[20:21], v[28:29], s[42:43], v[135:136]
	s_delay_alu instid0(VALU_DEP_1) | instskip(SKIP_1) | instid1(VALU_DEP_1)
	v_add_f64_e32 v[16:17], v[20:21], v[16:17]
	v_fma_f64 v[20:21], v[38:39], s[16:17], v[137:138]
	v_add_f64_e32 v[18:19], v[20:21], v[18:19]
	;; [unrolled: 5-line block ×4, first 2 shown]
	v_fma_f64 v[20:21], v[76:77], s[26:27], v[70:71]
	s_delay_alu instid0(VALU_DEP_1) | instskip(SKIP_1) | instid1(VALU_DEP_1)
	v_add_f64_e32 v[20:21], v[20:21], v[74:75]
	v_mul_f64_e32 v[74:75], s[36:37], v[68:69]
	v_fma_f64 v[22:23], v[62:63], s[6:7], v[74:75]
	s_delay_alu instid0(VALU_DEP_1) | instskip(SKIP_1) | instid1(VALU_DEP_1)
	v_add_f64_e32 v[22:23], v[22:23], v[96:97]
	v_mul_f64_e32 v[96:97], s[16:17], v[32:33]
	v_fma_f64 v[58:59], v[26:27], s[42:43], v[96:97]
	s_delay_alu instid0(VALU_DEP_1) | instskip(SKIP_1) | instid1(VALU_DEP_1)
	v_add_f64_e32 v[20:21], v[58:59], v[20:21]
	v_fma_f64 v[58:59], v[24:25], s[16:17], v[147:148]
	v_add_f64_e32 v[22:23], v[58:59], v[22:23]
	v_fma_f64 v[58:59], v[28:29], s[18:19], v[149:150]
	s_delay_alu instid0(VALU_DEP_1) | instskip(SKIP_1) | instid1(VALU_DEP_1)
	v_add_f64_e32 v[20:21], v[58:59], v[20:21]
	v_fma_f64 v[58:59], v[38:39], s[12:13], v[151:152]
	v_add_f64_e32 v[22:23], v[58:59], v[22:23]
	;; [unrolled: 5-line block ×4, first 2 shown]
	v_fma_f64 v[58:59], v[76:77], s[34:35], v[161:162]
	s_delay_alu instid0(VALU_DEP_1) | instskip(SKIP_2) | instid1(VALU_DEP_2)
	v_add_f64_e32 v[58:59], v[58:59], v[78:79]
	v_mul_f64_e32 v[78:79], s[18:19], v[68:69]
	v_mul_f64_e32 v[68:69], s[24:25], v[68:69]
	v_fma_f64 v[60:61], v[62:63], s[12:13], v[78:79]
	s_delay_alu instid0(VALU_DEP_1) | instskip(SKIP_1) | instid1(VALU_DEP_1)
	v_add_f64_e32 v[60:61], v[60:61], v[98:99]
	v_mul_f64_e32 v[98:99], s[14:15], v[32:33]
	v_fma_f64 v[163:164], v[26:27], s[22:23], v[98:99]
	s_delay_alu instid0(VALU_DEP_1) | instskip(SKIP_1) | instid1(VALU_DEP_1)
	v_add_f64_e32 v[58:59], v[163:164], v[58:59]
	v_mul_f64_e32 v[163:164], s[28:29], v[30:31]
	v_fma_f64 v[165:166], v[24:25], s[14:15], v[163:164]
	s_delay_alu instid0(VALU_DEP_1) | instskip(SKIP_2) | instid1(VALU_DEP_2)
	v_add_f64_e32 v[60:61], v[165:166], v[60:61]
	v_mul_f64_e32 v[165:166], s[0:1], v[42:43]
	v_mul_f64_e32 v[42:43], s[14:15], v[42:43]
	v_fma_f64 v[167:168], v[28:29], s[40:41], v[165:166]
	s_delay_alu instid0(VALU_DEP_1) | instskip(SKIP_2) | instid1(VALU_DEP_2)
	v_add_f64_e32 v[58:59], v[167:168], v[58:59]
	v_mul_f64_e32 v[167:168], s[30:31], v[40:41]
	;; [unrolled: 5-line block ×6, first 2 shown]
	v_mul_f64_e32 v[56:57], s[18:19], v[56:57]
	v_fma_f64 v[177:178], v[52:53], s[8:9], v[175:176]
	s_delay_alu instid0(VALU_DEP_1) | instskip(SKIP_2) | instid1(VALU_DEP_2)
	v_add_f64_e32 v[60:61], v[177:178], v[60:61]
	v_fma_f64 v[177:178], v[76:77], s[42:43], v[34:35]
	v_fma_f64 v[34:35], v[76:77], s[24:25], v[34:35]
	v_add_f64_e32 v[80:81], v[177:178], v[80:81]
	v_fma_f64 v[177:178], v[62:63], s[16:17], v[68:69]
	s_delay_alu instid0(VALU_DEP_3) | instskip(SKIP_1) | instid1(VALU_DEP_3)
	v_add_f64_e32 v[34:35], v[34:35], v[109:110]
	v_fma_f64 v[68:69], v[62:63], s[16:17], -v[68:69]
	v_add_f64_e32 v[101:102], v[177:178], v[101:102]
	v_mul_f64_e32 v[177:178], s[6:7], v[32:33]
	s_delay_alu instid0(VALU_DEP_3) | instskip(NEXT) | instid1(VALU_DEP_2)
	v_add_f64_e32 v[68:69], v[68:69], v[111:112]
	v_fma_f64 v[32:33], v[26:27], s[36:37], v[177:178]
	s_delay_alu instid0(VALU_DEP_1) | instskip(SKIP_1) | instid1(VALU_DEP_1)
	v_add_f64_e32 v[32:33], v[32:33], v[80:81]
	v_mul_f64_e32 v[80:81], s[26:27], v[30:31]
	v_fma_f64 v[30:31], v[24:25], s[6:7], v[80:81]
	v_fma_f64 v[80:81], v[24:25], s[6:7], -v[80:81]
	s_delay_alu instid0(VALU_DEP_2) | instskip(SKIP_2) | instid1(VALU_DEP_4)
	v_add_f64_e32 v[30:31], v[30:31], v[101:102]
	v_fma_f64 v[101:102], v[28:29], s[28:29], v[42:43]
	v_fma_f64 v[42:43], v[28:29], s[22:23], v[42:43]
	v_add_f64_e32 v[68:69], v[80:81], v[68:69]
	s_delay_alu instid0(VALU_DEP_3) | instskip(SKIP_2) | instid1(VALU_DEP_2)
	v_add_f64_e32 v[32:33], v[101:102], v[32:33]
	v_fma_f64 v[101:102], v[38:39], s[14:15], v[40:41]
	v_fma_f64 v[40:41], v[38:39], s[14:15], -v[40:41]
	v_add_f64_e32 v[30:31], v[101:102], v[30:31]
	v_fma_f64 v[101:102], v[36:37], s[38:39], v[50:51]
	s_delay_alu instid0(VALU_DEP_3) | instskip(NEXT) | instid1(VALU_DEP_2)
	v_add_f64_e32 v[40:41], v[40:41], v[68:69]
	v_add_f64_e32 v[32:33], v[101:102], v[32:33]
	v_fma_f64 v[101:102], v[44:45], s[8:9], v[46:47]
	s_delay_alu instid0(VALU_DEP_1) | instskip(SKIP_1) | instid1(VALU_DEP_1)
	v_add_f64_e32 v[101:102], v[101:102], v[30:31]
	v_fma_f64 v[30:31], v[48:49], s[34:35], v[54:55]
	v_add_f64_e32 v[30:31], v[30:31], v[32:33]
	v_fma_f64 v[32:33], v[52:53], s[12:13], v[56:57]
	s_delay_alu instid0(VALU_DEP_1) | instskip(SKIP_1) | instid1(VALU_DEP_1)
	v_add_f64_e32 v[32:33], v[32:33], v[101:102]
	v_fma_f64 v[101:102], v[26:27], s[26:27], v[177:178]
	v_add_f64_e32 v[34:35], v[101:102], v[34:35]
	s_delay_alu instid0(VALU_DEP_1) | instskip(SKIP_2) | instid1(VALU_DEP_2)
	v_add_f64_e32 v[34:35], v[42:43], v[34:35]
	v_fma_f64 v[42:43], v[36:37], s[20:21], v[50:51]
	v_fma_f64 v[50:51], v[26:27], s[28:29], v[98:99]
	v_add_f64_e32 v[34:35], v[42:43], v[34:35]
	v_fma_f64 v[42:43], v[44:45], s[8:9], -v[46:47]
	v_fma_f64 v[46:47], v[52:53], s[12:13], -v[56:57]
	;; [unrolled: 1-line block ×3, first 2 shown]
	s_delay_alu instid0(VALU_DEP_3) | instskip(SKIP_1) | instid1(VALU_DEP_2)
	v_add_f64_e32 v[42:43], v[42:43], v[40:41]
	v_fma_f64 v[40:41], v[48:49], s[18:19], v[54:55]
	v_add_f64_e32 v[42:43], v[46:47], v[42:43]
	s_delay_alu instid0(VALU_DEP_2) | instskip(SKIP_2) | instid1(VALU_DEP_2)
	v_add_f64_e32 v[40:41], v[40:41], v[34:35]
	v_fma_f64 v[34:35], v[76:77], s[18:19], v[161:162]
	v_fma_f64 v[46:47], v[62:63], s[12:13], -v[78:79]
	v_add_f64_e32 v[34:35], v[34:35], v[107:108]
	s_delay_alu instid0(VALU_DEP_2) | instskip(NEXT) | instid1(VALU_DEP_2)
	v_add_f64_e32 v[46:47], v[46:47], v[88:89]
	v_add_f64_e32 v[34:35], v[50:51], v[34:35]
	v_fma_f64 v[50:51], v[24:25], s[14:15], -v[163:164]
	s_delay_alu instid0(VALU_DEP_1) | instskip(SKIP_1) | instid1(VALU_DEP_1)
	v_add_f64_e32 v[46:47], v[50:51], v[46:47]
	v_fma_f64 v[50:51], v[28:29], s[30:31], v[165:166]
	v_add_f64_e32 v[34:35], v[50:51], v[34:35]
	v_fma_f64 v[50:51], v[38:39], s[0:1], -v[167:168]
	s_delay_alu instid0(VALU_DEP_1) | instskip(SKIP_1) | instid1(VALU_DEP_1)
	v_add_f64_e32 v[46:47], v[50:51], v[46:47]
	v_fma_f64 v[50:51], v[36:37], s[24:25], v[169:170]
	v_add_f64_e32 v[34:35], v[50:51], v[34:35]
	v_fma_f64 v[50:51], v[44:45], s[16:17], -v[171:172]
	s_delay_alu instid0(VALU_DEP_1) | instskip(SKIP_1) | instid1(VALU_DEP_2)
	v_add_f64_e32 v[46:47], v[50:51], v[46:47]
	v_fma_f64 v[50:51], v[48:49], s[20:21], v[173:174]
	v_add_f64_e32 v[56:57], v[56:57], v[46:47]
	s_delay_alu instid0(VALU_DEP_2)
	v_add_f64_e32 v[54:55], v[50:51], v[34:35]
	v_fma_f64 v[34:35], v[76:77], s[36:37], v[70:71]
	v_fma_f64 v[46:47], v[62:63], s[6:7], -v[74:75]
	v_fma_f64 v[50:51], v[26:27], s[24:25], v[96:97]
	v_fma_f64 v[70:71], v[52:53], s[14:15], -v[159:160]
	v_fma_f64 v[74:75], v[52:53], s[6:7], -v[145:146]
	v_add_f64_e32 v[34:35], v[34:35], v[105:106]
	v_add_f64_e32 v[46:47], v[46:47], v[86:87]
	s_delay_alu instid0(VALU_DEP_2) | instskip(SKIP_1) | instid1(VALU_DEP_1)
	v_add_f64_e32 v[34:35], v[50:51], v[34:35]
	v_fma_f64 v[50:51], v[24:25], s[16:17], -v[147:148]
	v_add_f64_e32 v[46:47], v[50:51], v[46:47]
	v_fma_f64 v[50:51], v[28:29], s[34:35], v[149:150]
	s_delay_alu instid0(VALU_DEP_1) | instskip(SKIP_1) | instid1(VALU_DEP_1)
	v_add_f64_e32 v[34:35], v[50:51], v[34:35]
	v_fma_f64 v[50:51], v[38:39], s[12:13], -v[151:152]
	v_add_f64_e32 v[46:47], v[50:51], v[46:47]
	v_fma_f64 v[50:51], v[36:37], s[30:31], v[153:154]
	s_delay_alu instid0(VALU_DEP_1) | instskip(SKIP_1) | instid1(VALU_DEP_1)
	v_add_f64_e32 v[34:35], v[50:51], v[34:35]
	v_fma_f64 v[50:51], v[44:45], s[0:1], -v[155:156]
	v_add_f64_e32 v[46:47], v[50:51], v[46:47]
	v_fma_f64 v[50:51], v[48:49], s[22:23], v[157:158]
	s_delay_alu instid0(VALU_DEP_2) | instskip(NEXT) | instid1(VALU_DEP_2)
	v_add_f64_e32 v[70:71], v[70:71], v[46:47]
	v_add_f64_e32 v[68:69], v[50:51], v[34:35]
	v_fma_f64 v[34:35], v[76:77], s[40:41], v[82:83]
	v_fma_f64 v[46:47], v[62:63], s[0:1], -v[72:73]
	v_fma_f64 v[50:51], v[26:27], s[38:39], v[92:93]
	v_fma_f64 v[26:27], v[26:27], s[34:35], v[117:118]
	s_delay_alu instid0(VALU_DEP_4) | instskip(NEXT) | instid1(VALU_DEP_4)
	v_add_f64_e32 v[34:35], v[34:35], v[94:95]
	v_add_f64_e32 v[46:47], v[46:47], v[84:85]
	s_delay_alu instid0(VALU_DEP_2) | instskip(SKIP_2) | instid1(VALU_DEP_2)
	v_add_f64_e32 v[34:35], v[50:51], v[34:35]
	v_fma_f64 v[50:51], v[24:25], s[8:9], -v[133:134]
	v_fma_f64 v[24:25], v[24:25], s[12:13], -v[119:120]
	v_add_f64_e32 v[46:47], v[50:51], v[46:47]
	v_fma_f64 v[50:51], v[28:29], s[24:25], v[135:136]
	v_fma_f64 v[28:29], v[28:29], s[20:21], v[121:122]
	s_delay_alu instid0(VALU_DEP_2) | instskip(SKIP_1) | instid1(VALU_DEP_1)
	v_add_f64_e32 v[34:35], v[50:51], v[34:35]
	v_fma_f64 v[50:51], v[38:39], s[16:17], -v[137:138]
	v_add_f64_e32 v[46:47], v[50:51], v[46:47]
	v_fma_f64 v[50:51], v[36:37], s[28:29], v[139:140]
	v_fma_f64 v[36:37], v[36:37], s[26:27], v[125:126]
	s_delay_alu instid0(VALU_DEP_2) | instskip(SKIP_1) | instid1(VALU_DEP_1)
	v_add_f64_e32 v[34:35], v[50:51], v[34:35]
	v_fma_f64 v[50:51], v[44:45], s[14:15], -v[141:142]
	v_add_f64_e32 v[46:47], v[50:51], v[46:47]
	v_fma_f64 v[50:51], v[48:49], s[26:27], v[143:144]
	s_delay_alu instid0(VALU_DEP_2) | instskip(NEXT) | instid1(VALU_DEP_2)
	v_add_f64_e32 v[74:75], v[74:75], v[46:47]
	v_add_f64_e32 v[72:73], v[50:51], v[34:35]
	v_fma_f64 v[34:35], v[76:77], s[28:29], v[113:114]
	v_fma_f64 v[46:47], v[62:63], s[14:15], -v[115:116]
	s_delay_alu instid0(VALU_DEP_2) | instskip(NEXT) | instid1(VALU_DEP_2)
	v_add_f64_e32 v[34:35], v[34:35], v[90:91]
	v_add_f64_e32 v[46:47], v[46:47], v[103:104]
	s_delay_alu instid0(VALU_DEP_2) | instskip(SKIP_1) | instid1(VALU_DEP_3)
	v_add_f64_e32 v[26:27], v[26:27], v[34:35]
	v_fma_f64 v[34:35], v[38:39], s[8:9], -v[123:124]
	v_add_f64_e32 v[24:25], v[24:25], v[46:47]
	s_delay_alu instid0(VALU_DEP_3) | instskip(SKIP_1) | instid1(VALU_DEP_3)
	v_add_f64_e32 v[26:27], v[28:29], v[26:27]
	v_fma_f64 v[28:29], v[44:45], s[6:7], -v[127:128]
	v_add_f64_e32 v[24:25], v[34:35], v[24:25]
	v_fma_f64 v[34:35], v[48:49], s[40:41], v[129:130]
	s_delay_alu instid0(VALU_DEP_4) | instskip(SKIP_1) | instid1(VALU_DEP_4)
	v_add_f64_e32 v[26:27], v[36:37], v[26:27]
	v_fma_f64 v[36:37], v[52:53], s[0:1], -v[131:132]
	v_add_f64_e32 v[28:29], v[28:29], v[24:25]
	s_delay_alu instid0(VALU_DEP_3) | instskip(NEXT) | instid1(VALU_DEP_2)
	v_add_f64_e32 v[24:25], v[34:35], v[26:27]
	v_add_f64_e32 v[26:27], v[36:37], v[28:29]
	v_mad_u32_u24 v28, 0xd0, v100, 0
	ds_store_b128 v28, v[8:11] offset:32
	ds_store_b128 v28, v[16:19] offset:48
	;; [unrolled: 1-line block ×3, first 2 shown]
	v_and_b32_e32 v0, 0xff, v100
	s_load_b64 s[2:3], s[2:3], 0x0
	ds_store_b128 v28, v[4:7]
	ds_store_b128 v28, v[20:23] offset:64
	ds_store_b128 v28, v[58:61] offset:80
	ds_store_b128 v28, v[30:33] offset:96
	ds_store_b128 v28, v[40:43] offset:112
	ds_store_b128 v28, v[54:57] offset:128
	ds_store_b128 v28, v[68:71] offset:144
	ds_store_b128 v28, v[72:75] offset:160
	ds_store_b128 v28, v[12:15] offset:176
	ds_store_b128 v28, v[24:27] offset:192
	v_mul_lo_u16 v0, 0x4f, v0
	global_wb scope:SCOPE_SE
	s_wait_dscnt 0x0
	s_wait_kmcnt 0x0
	s_barrier_signal -1
	s_barrier_wait -1
	global_inv scope:SCOPE_SE
	v_lshrrev_b16 v102, 10, v0
	v_mad_i32_i24 v101, 0xffffff40, v100, v28
	s_delay_alu instid0(VALU_DEP_2) | instskip(NEXT) | instid1(VALU_DEP_1)
	v_mul_lo_u16 v0, v102, 13
	v_sub_nc_u16 v0, v100, v0
	s_delay_alu instid0(VALU_DEP_1) | instskip(NEXT) | instid1(VALU_DEP_1)
	v_and_b32_e32 v103, 0xff, v0
	v_mul_u32_u24_e32 v0, 12, v103
	s_delay_alu instid0(VALU_DEP_1)
	v_lshlrev_b32_e32 v40, 4, v0
	s_clause 0x4
	global_load_b128 v[4:7], v40, s[4:5]
	global_load_b128 v[8:11], v40, s[4:5] offset:176
	global_load_b128 v[12:15], v40, s[4:5] offset:16
	;; [unrolled: 1-line block ×4, first 2 shown]
	ds_load_b128 v[28:31], v101 offset:832
	ds_load_b128 v[0:3], v101
	ds_load_b128 v[32:35], v101 offset:9984
	s_wait_loadcnt_dscnt 0x402
	v_mul_f64_e32 v[16:17], v[28:29], v[6:7]
	v_mul_f64_e32 v[6:7], v[30:31], v[6:7]
	s_wait_loadcnt_dscnt 0x300
	v_mul_f64_e32 v[22:23], v[32:33], v[10:11]
	s_delay_alu instid0(VALU_DEP_3) | instskip(NEXT) | instid1(VALU_DEP_3)
	v_fma_f64 v[50:51], v[30:31], v[4:5], v[16:17]
	v_fma_f64 v[48:49], v[28:29], v[4:5], -v[6:7]
	v_mul_f64_e32 v[6:7], v[34:35], v[10:11]
	ds_load_b128 v[28:31], v101 offset:1664
	v_fma_f64 v[4:5], v[34:35], v[8:9], v[22:23]
	v_fma_f64 v[6:7], v[32:33], v[8:9], -v[6:7]
	ds_load_b128 v[8:11], v101 offset:2496
	s_wait_loadcnt_dscnt 0x201
	v_mul_f64_e32 v[16:17], v[30:31], v[14:15]
	v_mul_f64_e32 v[22:23], v[28:29], v[14:15]
	v_add_f64_e32 v[92:93], v[50:51], v[4:5]
	v_add_f64_e32 v[68:69], v[48:49], v[6:7]
	s_delay_alu instid0(VALU_DEP_4) | instskip(NEXT) | instid1(VALU_DEP_4)
	v_fma_f64 v[14:15], v[28:29], v[12:13], -v[16:17]
	v_fma_f64 v[16:17], v[30:31], v[12:13], v[22:23]
	s_wait_loadcnt_dscnt 0x100
	v_mul_f64_e32 v[12:13], v[10:11], v[20:21]
	v_mul_f64_e32 v[22:23], v[8:9], v[20:21]
	global_load_b128 v[30:33], v40, s[4:5] offset:48
	v_fma_f64 v[20:21], v[8:9], v[18:19], -v[12:13]
	v_fma_f64 v[22:23], v[10:11], v[18:19], v[22:23]
	ds_load_b128 v[10:13], v101 offset:9152
	ds_load_b128 v[34:37], v101 offset:8320
	s_wait_loadcnt_dscnt 0x101
	v_mul_f64_e32 v[8:9], v[10:11], v[26:27]
	s_delay_alu instid0(VALU_DEP_1) | instskip(SKIP_1) | instid1(VALU_DEP_2)
	v_fma_f64 v[8:9], v[12:13], v[24:25], v[8:9]
	v_mul_f64_e32 v[12:13], v[12:13], v[26:27]
	v_add_f64_e64 v[136:137], v[16:17], -v[8:9]
	s_delay_alu instid0(VALU_DEP_2)
	v_fma_f64 v[10:11], v[10:11], v[24:25], -v[12:13]
	s_clause 0x1
	global_load_b128 v[24:27], v40, s[4:5] offset:144
	global_load_b128 v[41:44], v40, s[4:5] offset:128
	v_mul_f64_e32 v[176:177], s[20:21], v[136:137]
	v_add_f64_e64 v[138:139], v[14:15], -v[10:11]
	v_mul_f64_e32 v[196:197], s[40:41], v[136:137]
	v_mul_f64_e32 v[216:217], s[36:37], v[136:137]
	;; [unrolled: 1-line block ×3, first 2 shown]
	s_delay_alu instid0(VALU_DEP_4) | instskip(SKIP_4) | instid1(VALU_DEP_2)
	v_mul_f64_e32 v[178:179], s[20:21], v[138:139]
	v_mul_f64_e32 v[198:199], s[40:41], v[138:139]
	s_wait_loadcnt_dscnt 0x100
	v_mul_f64_e32 v[12:13], v[34:35], v[26:27]
	v_mul_f64_e32 v[18:19], v[36:37], v[26:27]
	v_fma_f64 v[12:13], v[36:37], v[24:25], v[12:13]
	s_delay_alu instid0(VALU_DEP_2)
	v_fma_f64 v[18:19], v[34:35], v[24:25], -v[18:19]
	ds_load_b128 v[24:27], v101 offset:3328
	ds_load_b128 v[34:37], v101 offset:4160
	;; [unrolled: 1-line block ×4, first 2 shown]
	s_wait_dscnt 0x3
	v_mul_f64_e32 v[28:29], v[24:25], v[32:33]
	v_add_f64_e64 v[140:141], v[22:23], -v[12:13]
	v_add_f64_e64 v[142:143], v[20:21], -v[18:19]
	s_delay_alu instid0(VALU_DEP_3) | instskip(SKIP_1) | instid1(VALU_DEP_4)
	v_fma_f64 v[28:29], v[26:27], v[30:31], v[28:29]
	v_mul_f64_e32 v[26:27], v[26:27], v[32:33]
	v_mul_f64_e32 v[180:181], s[40:41], v[140:141]
	s_delay_alu instid0(VALU_DEP_4)
	v_mul_f64_e32 v[182:183], s[40:41], v[142:143]
	v_mul_f64_e32 v[200:201], s[38:39], v[140:141]
	;; [unrolled: 1-line block ×5, first 2 shown]
	v_fma_f64 v[30:31], v[24:25], v[30:31], -v[26:27]
	s_wait_loadcnt_dscnt 0x1
	v_mul_f64_e32 v[24:25], v[52:53], v[43:44]
	v_mul_f64_e32 v[26:27], v[54:55], v[43:44]
	s_delay_alu instid0(VALU_DEP_2) | instskip(NEXT) | instid1(VALU_DEP_2)
	v_fma_f64 v[24:25], v[54:55], v[41:42], v[24:25]
	v_fma_f64 v[26:27], v[52:53], v[41:42], -v[26:27]
	s_clause 0x1
	global_load_b128 v[41:44], v40, s[4:5] offset:64
	global_load_b128 v[52:55], v40, s[4:5] offset:80
	v_add_f64_e64 v[144:145], v[28:29], -v[24:25]
	v_add_f64_e64 v[146:147], v[30:31], -v[26:27]
	v_add_f64_e32 v[148:149], v[28:29], v[24:25]
	s_delay_alu instid0(VALU_DEP_3) | instskip(NEXT) | instid1(VALU_DEP_3)
	v_mul_f64_e32 v[184:185], s[36:37], v[144:145]
	v_mul_f64_e32 v[150:151], s[20:21], v[146:147]
	v_mul_f64_e32 v[186:187], s[36:37], v[146:147]
	v_mul_f64_e32 v[204:205], s[24:25], v[144:145]
	v_mul_f64_e32 v[206:207], s[24:25], v[146:147]
	v_mul_f64_e32 v[220:221], s[34:35], v[144:145]
	v_mul_f64_e32 v[222:223], s[34:35], v[146:147]
	v_mul_f64_e32 v[236:237], s[30:31], v[144:145]
	v_mul_f64_e32 v[238:239], s[30:31], v[146:147]
	s_wait_loadcnt 0x1
	v_mul_f64_e32 v[32:33], v[36:37], v[43:44]
	s_delay_alu instid0(VALU_DEP_1) | instskip(SKIP_1) | instid1(VALU_DEP_1)
	v_fma_f64 v[32:33], v[34:35], v[41:42], -v[32:33]
	v_mul_f64_e32 v[34:35], v[34:35], v[43:44]
	v_fma_f64 v[34:35], v[36:37], v[41:42], v[34:35]
	ds_load_b128 v[41:44], v101 offset:4992
	ds_load_b128 v[60:63], v101 offset:5824
	s_wait_loadcnt_dscnt 0x1
	v_mul_f64_e32 v[36:37], v[43:44], v[54:55]
	v_mul_f64_e32 v[38:39], v[41:42], v[54:55]
	s_delay_alu instid0(VALU_DEP_2) | instskip(NEXT) | instid1(VALU_DEP_2)
	v_fma_f64 v[36:37], v[41:42], v[52:53], -v[36:37]
	v_fma_f64 v[38:39], v[43:44], v[52:53], v[38:39]
	s_clause 0x1
	global_load_b128 v[42:45], v40, s[4:5] offset:96
	global_load_b128 v[52:55], v40, s[4:5] offset:112
	global_wb scope:SCOPE_SE
	s_wait_loadcnt_dscnt 0x0
	s_barrier_signal -1
	s_barrier_wait -1
	global_inv scope:SCOPE_SE
	v_mul_f64_e32 v[40:41], v[62:63], v[44:45]
	v_mul_f64_e32 v[44:45], v[60:61], v[44:45]
	;; [unrolled: 1-line block ×3, first 2 shown]
	s_delay_alu instid0(VALU_DEP_3) | instskip(NEXT) | instid1(VALU_DEP_3)
	v_fma_f64 v[40:41], v[60:61], v[42:43], -v[40:41]
	v_fma_f64 v[42:43], v[62:63], v[42:43], v[44:45]
	v_mul_f64_e32 v[44:45], v[58:59], v[54:55]
	s_delay_alu instid0(VALU_DEP_4) | instskip(NEXT) | instid1(VALU_DEP_4)
	v_fma_f64 v[46:47], v[58:59], v[52:53], v[46:47]
	v_add_f64_e32 v[166:167], v[36:37], v[40:41]
	s_delay_alu instid0(VALU_DEP_4) | instskip(NEXT) | instid1(VALU_DEP_4)
	v_add_f64_e64 v[164:165], v[38:39], -v[42:43]
	v_fma_f64 v[44:45], v[56:57], v[52:53], -v[44:45]
	v_add_f64_e64 v[52:53], v[50:51], -v[4:5]
	v_add_f64_e32 v[50:51], v[2:3], v[50:51]
	v_add_f64_e64 v[152:153], v[34:35], -v[46:47]
	v_add_f64_e32 v[160:161], v[34:35], v[46:47]
	;; [unrolled: 2-line block ×3, first 2 shown]
	v_mul_f64_e32 v[168:169], s[40:41], v[164:165]
	v_add_f64_e32 v[154:155], v[32:33], v[44:45]
	v_mul_f64_e32 v[54:55], s[42:43], v[52:53]
	v_mul_f64_e32 v[56:57], s[28:29], v[52:53]
	;; [unrolled: 1-line block ×7, first 2 shown]
	v_add_f64_e64 v[158:159], v[32:33], -v[44:45]
	v_mul_f64_e32 v[174:175], s[40:41], v[170:171]
	v_mul_f64_e32 v[188:189], s[18:19], v[152:153]
	;; [unrolled: 1-line block ×13, first 2 shown]
	v_fma_f64 v[70:71], v[68:69], s[16:17], -v[54:55]
	v_fma_f64 v[72:73], v[68:69], s[16:17], v[54:55]
	v_fma_f64 v[74:75], v[68:69], s[14:15], -v[56:57]
	v_fma_f64 v[80:81], v[68:69], s[8:9], -v[60:61]
	v_fma_f64 v[60:61], v[68:69], s[8:9], v[60:61]
	v_fma_f64 v[88:89], v[68:69], s[0:1], -v[52:53]
	v_fma_f64 v[90:91], v[68:69], s[0:1], v[52:53]
	v_add_f64_e64 v[52:53], v[48:49], -v[6:7]
	v_fma_f64 v[82:83], v[68:69], s[6:7], -v[62:63]
	v_fma_f64 v[62:63], v[68:69], s[6:7], v[62:63]
	v_fma_f64 v[56:57], v[68:69], s[14:15], v[56:57]
	v_fma_f64 v[76:77], v[68:69], s[12:13], -v[58:59]
	v_fma_f64 v[78:79], v[68:69], s[12:13], v[58:59]
	v_add_f64_e32 v[48:49], v[0:1], v[48:49]
	v_mul_f64_e32 v[162:163], s[26:27], v[158:159]
	v_mul_f64_e32 v[190:191], s[18:19], v[158:159]
	;; [unrolled: 1-line block ×5, first 2 shown]
	v_add_f64_e32 v[72:73], v[0:1], v[72:73]
	v_add_f64_e32 v[116:117], v[0:1], v[74:75]
	;; [unrolled: 1-line block ×6, first 2 shown]
	v_mul_f64_e32 v[86:87], s[26:27], v[52:53]
	v_mul_f64_e32 v[54:55], s[42:43], v[52:53]
	;; [unrolled: 1-line block ×6, first 2 shown]
	v_add_f64_e32 v[120:121], v[0:1], v[76:77]
	v_add_f64_e32 v[128:129], v[0:1], v[82:83]
	;; [unrolled: 1-line block ×3, first 2 shown]
	v_mul_f64_e32 v[74:75], s[28:29], v[138:139]
	v_mul_f64_e32 v[82:83], s[34:35], v[140:141]
	v_add_f64_e32 v[14:15], v[48:49], v[14:15]
	v_fma_f64 v[110:111], v[92:93], s[6:7], v[86:87]
	v_fma_f64 v[112:113], v[92:93], s[6:7], -v[86:87]
	v_add_f64_e32 v[86:87], v[0:1], v[62:63]
	v_mul_f64_e32 v[62:63], s[28:29], v[136:137]
	v_fma_f64 v[94:95], v[92:93], s[16:17], v[54:55]
	v_fma_f64 v[96:97], v[92:93], s[16:17], -v[54:55]
	v_fma_f64 v[98:99], v[92:93], s[14:15], v[58:59]
	v_fma_f64 v[104:105], v[92:93], s[14:15], -v[58:59]
	;; [unrolled: 2-line block ×5, first 2 shown]
	v_add_f64_e32 v[52:53], v[0:1], v[70:71]
	v_add_f64_e32 v[58:59], v[0:1], v[56:57]
	;; [unrolled: 1-line block ×4, first 2 shown]
	v_mul_f64_e32 v[136:137], s[24:25], v[136:137]
	v_add_f64_e32 v[14:15], v[14:15], v[20:21]
	v_add_f64_e32 v[130:131], v[2:3], v[110:111]
	v_fma_f64 v[0:1], v[60:61], s[14:15], v[62:63]
	v_add_f64_e32 v[54:55], v[2:3], v[94:95]
	v_add_f64_e32 v[94:95], v[2:3], v[96:97]
	;; [unrolled: 1-line block ×11, first 2 shown]
	v_mul_f64_e32 v[98:99], s[20:21], v[144:145]
	v_fma_f64 v[92:93], v[78:79], s[12:13], v[82:83]
	v_fma_f64 v[108:109], v[78:79], s[0:1], -v[180:181]
	v_fma_f64 v[112:113], v[78:79], s[8:9], -v[200:201]
	v_add_f64_e32 v[14:15], v[14:15], v[30:31]
	v_add_f64_e32 v[0:1], v[0:1], v[72:73]
	;; [unrolled: 1-line block ×4, first 2 shown]
	s_delay_alu instid0(VALU_DEP_4) | instskip(NEXT) | instid1(VALU_DEP_4)
	v_add_f64_e32 v[14:15], v[14:15], v[32:33]
	v_add_f64_e32 v[0:1], v[92:93], v[0:1]
	s_delay_alu instid0(VALU_DEP_4)
	v_fma_f64 v[2:3], v[72:73], s[14:15], -v[74:75]
	v_add_f64_e32 v[92:93], v[22:23], v[12:13]
	v_fma_f64 v[106:107], v[72:73], s[8:9], v[178:179]
	v_fma_f64 v[110:111], v[72:73], s[0:1], v[198:199]
	v_add_f64_e32 v[16:17], v[16:17], v[22:23]
	v_add_f64_e32 v[14:15], v[14:15], v[36:37]
	v_add_f64_e32 v[2:3], v[2:3], v[94:95]
	v_mul_f64_e32 v[94:95], s[34:35], v[142:143]
	v_add_f64_e32 v[106:107], v[106:107], v[118:119]
	v_add_f64_e32 v[110:111], v[110:111], v[122:123]
	;; [unrolled: 1-line block ×4, first 2 shown]
	v_fma_f64 v[96:97], v[92:93], s[12:13], -v[94:95]
	s_delay_alu instid0(VALU_DEP_3) | instskip(NEXT) | instid1(VALU_DEP_3)
	v_add_f64_e32 v[16:17], v[16:17], v[34:35]
	v_add_f64_e32 v[14:15], v[14:15], v[44:45]
	s_delay_alu instid0(VALU_DEP_3) | instskip(SKIP_1) | instid1(VALU_DEP_4)
	v_add_f64_e32 v[2:3], v[96:97], v[2:3]
	v_add_f64_e32 v[96:97], v[30:31], v[26:27]
	v_add_f64_e32 v[16:17], v[16:17], v[38:39]
	s_delay_alu instid0(VALU_DEP_4) | instskip(NEXT) | instid1(VALU_DEP_3)
	v_add_f64_e32 v[14:15], v[14:15], v[26:27]
	v_fma_f64 v[104:105], v[96:97], s[8:9], v[98:99]
	s_delay_alu instid0(VALU_DEP_3) | instskip(NEXT) | instid1(VALU_DEP_3)
	v_add_f64_e32 v[16:17], v[16:17], v[42:43]
	v_add_f64_e32 v[14:15], v[14:15], v[18:19]
	s_delay_alu instid0(VALU_DEP_3) | instskip(SKIP_1) | instid1(VALU_DEP_4)
	v_add_f64_e32 v[0:1], v[104:105], v[0:1]
	v_fma_f64 v[104:105], v[148:149], s[8:9], -v[150:151]
	v_add_f64_e32 v[16:17], v[16:17], v[46:47]
	s_delay_alu instid0(VALU_DEP_4) | instskip(NEXT) | instid1(VALU_DEP_3)
	v_add_f64_e32 v[10:11], v[14:15], v[10:11]
                                        ; implicit-def: $vgpr14_vgpr15
	v_add_f64_e32 v[2:3], v[104:105], v[2:3]
	v_fma_f64 v[104:105], v[154:155], s[6:7], v[156:157]
	s_delay_alu instid0(VALU_DEP_4) | instskip(NEXT) | instid1(VALU_DEP_4)
	v_add_f64_e32 v[16:17], v[16:17], v[24:25]
	v_add_f64_e32 v[6:7], v[10:11], v[6:7]
                                        ; implicit-def: $vgpr10_vgpr11
	s_delay_alu instid0(VALU_DEP_3) | instskip(SKIP_1) | instid1(VALU_DEP_4)
	v_add_f64_e32 v[0:1], v[104:105], v[0:1]
	v_fma_f64 v[104:105], v[160:161], s[6:7], -v[162:163]
	v_add_f64_e32 v[12:13], v[16:17], v[12:13]
	s_delay_alu instid0(VALU_DEP_2) | instskip(SKIP_1) | instid1(VALU_DEP_3)
	v_add_f64_e32 v[2:3], v[104:105], v[2:3]
	v_fma_f64 v[104:105], v[166:167], s[0:1], v[168:169]
	v_add_f64_e32 v[8:9], v[12:13], v[8:9]
	s_delay_alu instid0(VALU_DEP_2) | instskip(SKIP_1) | instid1(VALU_DEP_3)
	v_add_f64_e32 v[0:1], v[104:105], v[0:1]
	v_fma_f64 v[104:105], v[172:173], s[0:1], -v[174:175]
	v_add_f64_e32 v[8:9], v[8:9], v[4:5]
	v_and_b32_e32 v4, 0xffff, v102
	v_lshlrev_b32_e32 v5, 4, v103
	s_delay_alu instid0(VALU_DEP_2) | instskip(NEXT) | instid1(VALU_DEP_1)
	v_mul_u32_u24_e32 v4, 0xa90, v4
	v_add3_u32 v4, 0, v4, v5
	v_add_f64_e32 v[2:3], v[104:105], v[2:3]
	v_fma_f64 v[104:105], v[60:61], s[8:9], -v[176:177]
	s_delay_alu instid0(VALU_DEP_1) | instskip(NEXT) | instid1(VALU_DEP_1)
	v_add_f64_e32 v[104:105], v[104:105], v[116:117]
	v_add_f64_e32 v[104:105], v[108:109], v[104:105]
	v_fma_f64 v[108:109], v[92:93], s[0:1], v[182:183]
	s_delay_alu instid0(VALU_DEP_1) | instskip(SKIP_1) | instid1(VALU_DEP_1)
	v_add_f64_e32 v[106:107], v[108:109], v[106:107]
	v_fma_f64 v[108:109], v[96:97], s[6:7], -v[184:185]
	v_add_f64_e32 v[104:105], v[108:109], v[104:105]
	v_fma_f64 v[108:109], v[148:149], s[6:7], v[186:187]
	s_delay_alu instid0(VALU_DEP_1) | instskip(SKIP_1) | instid1(VALU_DEP_1)
	v_add_f64_e32 v[106:107], v[108:109], v[106:107]
	v_fma_f64 v[108:109], v[154:155], s[12:13], -v[188:189]
	;; [unrolled: 5-line block ×4, first 2 shown]
	v_add_f64_e32 v[108:109], v[108:109], v[120:121]
	s_delay_alu instid0(VALU_DEP_1) | instskip(SKIP_1) | instid1(VALU_DEP_1)
	v_add_f64_e32 v[108:109], v[112:113], v[108:109]
	v_fma_f64 v[112:113], v[92:93], s[8:9], v[202:203]
	v_add_f64_e32 v[110:111], v[112:113], v[110:111]
	v_fma_f64 v[112:113], v[96:97], s[16:17], -v[204:205]
	s_delay_alu instid0(VALU_DEP_1) | instskip(SKIP_1) | instid1(VALU_DEP_1)
	v_add_f64_e32 v[108:109], v[112:113], v[108:109]
	v_fma_f64 v[112:113], v[148:149], s[16:17], v[206:207]
	v_add_f64_e32 v[110:111], v[112:113], v[110:111]
	v_fma_f64 v[112:113], v[154:155], s[14:15], -v[208:209]
	;; [unrolled: 5-line block ×4, first 2 shown]
	s_delay_alu instid0(VALU_DEP_1) | instskip(SKIP_1) | instid1(VALU_DEP_1)
	v_add_f64_e32 v[112:113], v[112:113], v[124:125]
	v_mul_f64_e32 v[124:125], s[36:37], v[138:139]
	v_fma_f64 v[114:115], v[72:73], s[6:7], v[124:125]
	v_fma_f64 v[124:125], v[72:73], s[6:7], -v[124:125]
	s_delay_alu instid0(VALU_DEP_2) | instskip(SKIP_1) | instid1(VALU_DEP_3)
	v_add_f64_e32 v[114:115], v[114:115], v[126:127]
	v_mul_f64_e32 v[126:127], s[24:25], v[140:141]
	v_add_f64_e32 v[76:77], v[124:125], v[76:77]
	s_delay_alu instid0(VALU_DEP_2) | instskip(SKIP_2) | instid1(VALU_DEP_3)
	v_fma_f64 v[116:117], v[78:79], s[16:17], -v[126:127]
	v_fma_f64 v[124:125], v[78:79], s[16:17], v[126:127]
	v_fma_f64 v[126:127], v[172:173], s[14:15], -v[230:231]
	v_add_f64_e32 v[112:113], v[116:117], v[112:113]
	v_fma_f64 v[116:117], v[92:93], s[16:17], v[218:219]
	s_delay_alu instid0(VALU_DEP_1) | instskip(SKIP_1) | instid1(VALU_DEP_1)
	v_add_f64_e32 v[114:115], v[116:117], v[114:115]
	v_fma_f64 v[116:117], v[96:97], s[12:13], -v[220:221]
	v_add_f64_e32 v[112:113], v[116:117], v[112:113]
	v_fma_f64 v[116:117], v[148:149], s[12:13], v[222:223]
	s_delay_alu instid0(VALU_DEP_1) | instskip(SKIP_1) | instid1(VALU_DEP_1)
	v_add_f64_e32 v[114:115], v[116:117], v[114:115]
	;; [unrolled: 5-line block ×3, first 2 shown]
	v_fma_f64 v[116:117], v[166:167], s[14:15], -v[228:229]
	v_add_f64_e32 v[112:113], v[116:117], v[112:113]
	v_fma_f64 v[116:117], v[172:173], s[14:15], v[230:231]
	s_delay_alu instid0(VALU_DEP_1)
	v_add_f64_e32 v[114:115], v[116:117], v[114:115]
	v_fma_f64 v[116:117], v[60:61], s[12:13], -v[232:233]
	ds_store_b128 v4, v[104:107] offset:416
	ds_store_b128 v4, v[108:111] offset:624
	ds_store_b128 v4, v[112:115] offset:832
	v_add_f64_e32 v[116:117], v[116:117], v[128:129]
	v_mul_f64_e32 v[128:129], s[18:19], v[138:139]
	s_delay_alu instid0(VALU_DEP_1) | instskip(SKIP_1) | instid1(VALU_DEP_2)
	v_fma_f64 v[118:119], v[72:73], s[12:13], v[128:129]
	v_fma_f64 v[128:129], v[72:73], s[12:13], -v[128:129]
	v_add_f64_e32 v[118:119], v[118:119], v[130:131]
	v_mul_f64_e32 v[130:131], s[28:29], v[140:141]
	s_delay_alu instid0(VALU_DEP_3) | instskip(NEXT) | instid1(VALU_DEP_2)
	v_add_f64_e32 v[84:85], v[128:129], v[84:85]
	v_fma_f64 v[120:121], v[78:79], s[14:15], -v[130:131]
	v_fma_f64 v[128:129], v[78:79], s[14:15], v[130:131]
	v_fma_f64 v[130:131], v[172:173], s[8:9], -v[246:247]
	s_delay_alu instid0(VALU_DEP_3) | instskip(SKIP_1) | instid1(VALU_DEP_1)
	v_add_f64_e32 v[116:117], v[120:121], v[116:117]
	v_fma_f64 v[120:121], v[92:93], s[14:15], v[234:235]
	v_add_f64_e32 v[118:119], v[120:121], v[118:119]
	v_fma_f64 v[120:121], v[96:97], s[0:1], -v[236:237]
	s_delay_alu instid0(VALU_DEP_1) | instskip(SKIP_1) | instid1(VALU_DEP_1)
	v_add_f64_e32 v[116:117], v[120:121], v[116:117]
	v_fma_f64 v[120:121], v[148:149], s[0:1], v[238:239]
	v_add_f64_e32 v[118:119], v[120:121], v[118:119]
	v_fma_f64 v[120:121], v[154:155], s[16:17], -v[240:241]
	s_delay_alu instid0(VALU_DEP_1) | instskip(SKIP_1) | instid1(VALU_DEP_1)
	v_add_f64_e32 v[116:117], v[120:121], v[116:117]
	v_fma_f64 v[120:121], v[160:161], s[16:17], v[242:243]
	v_add_f64_e32 v[118:119], v[120:121], v[118:119]
	v_fma_f64 v[120:121], v[166:167], s[8:9], -v[244:245]
	s_delay_alu instid0(VALU_DEP_1) | instskip(SKIP_1) | instid1(VALU_DEP_1)
	v_add_f64_e32 v[116:117], v[120:121], v[116:117]
	v_fma_f64 v[120:121], v[172:173], s[8:9], v[246:247]
	v_add_f64_e32 v[118:119], v[120:121], v[118:119]
	v_fma_f64 v[120:121], v[60:61], s[16:17], -v[136:137]
	v_fma_f64 v[136:137], v[60:61], s[16:17], v[136:137]
	s_delay_alu instid0(VALU_DEP_2) | instskip(SKIP_1) | instid1(VALU_DEP_3)
	v_add_f64_e32 v[120:121], v[120:121], v[132:133]
	v_mul_f64_e32 v[132:133], s[24:25], v[138:139]
	v_add_f64_e32 v[90:91], v[136:137], v[90:91]
	s_delay_alu instid0(VALU_DEP_2) | instskip(SKIP_1) | instid1(VALU_DEP_2)
	v_fma_f64 v[122:123], v[72:73], s[16:17], v[132:133]
	v_fma_f64 v[132:133], v[72:73], s[16:17], -v[132:133]
	v_add_f64_e32 v[122:123], v[122:123], v[134:135]
	v_mul_f64_e32 v[134:135], s[26:27], v[140:141]
	s_delay_alu instid0(VALU_DEP_3) | instskip(NEXT) | instid1(VALU_DEP_2)
	v_add_f64_e32 v[88:89], v[132:133], v[88:89]
	v_fma_f64 v[138:139], v[78:79], s[6:7], -v[134:135]
	v_fma_f64 v[132:133], v[78:79], s[6:7], v[134:135]
	s_delay_alu instid0(VALU_DEP_2) | instskip(SKIP_1) | instid1(VALU_DEP_3)
	v_add_f64_e32 v[120:121], v[138:139], v[120:121]
	v_mul_f64_e32 v[138:139], s[26:27], v[142:143]
	v_add_f64_e32 v[90:91], v[132:133], v[90:91]
	s_delay_alu instid0(VALU_DEP_2) | instskip(SKIP_1) | instid1(VALU_DEP_2)
	v_fma_f64 v[140:141], v[92:93], s[6:7], v[138:139]
	v_fma_f64 v[132:133], v[92:93], s[6:7], -v[138:139]
	v_add_f64_e32 v[122:123], v[140:141], v[122:123]
	v_mul_f64_e32 v[140:141], s[22:23], v[144:145]
	s_delay_alu instid0(VALU_DEP_3) | instskip(NEXT) | instid1(VALU_DEP_2)
	;; [unrolled: 13-line block ×3, first 2 shown]
	v_add_f64_e32 v[88:89], v[132:133], v[88:89]
	v_fma_f64 v[146:147], v[154:155], s[8:9], -v[144:145]
	v_fma_f64 v[132:133], v[154:155], s[8:9], v[144:145]
	s_delay_alu instid0(VALU_DEP_2) | instskip(SKIP_2) | instid1(VALU_DEP_4)
	v_add_f64_e32 v[120:121], v[146:147], v[120:121]
	v_mul_f64_e32 v[146:147], s[20:21], v[158:159]
	v_mul_f64_e32 v[158:159], s[18:19], v[170:171]
	v_add_f64_e32 v[90:91], v[132:133], v[90:91]
	s_delay_alu instid0(VALU_DEP_3) | instskip(SKIP_1) | instid1(VALU_DEP_4)
	v_fma_f64 v[152:153], v[160:161], s[8:9], v[146:147]
	v_fma_f64 v[132:133], v[160:161], s[8:9], -v[146:147]
	v_fma_f64 v[134:135], v[172:173], s[12:13], -v[158:159]
	s_delay_alu instid0(VALU_DEP_3) | instskip(SKIP_1) | instid1(VALU_DEP_4)
	v_add_f64_e32 v[122:123], v[152:153], v[122:123]
	v_mul_f64_e32 v[152:153], s[18:19], v[164:165]
	v_add_f64_e32 v[132:133], v[132:133], v[88:89]
	s_delay_alu instid0(VALU_DEP_2) | instskip(SKIP_1) | instid1(VALU_DEP_2)
	v_fma_f64 v[88:89], v[166:167], s[12:13], v[152:153]
	v_fma_f64 v[164:165], v[166:167], s[12:13], -v[152:153]
	v_add_f64_e32 v[88:89], v[88:89], v[90:91]
	s_delay_alu instid0(VALU_DEP_4) | instskip(SKIP_1) | instid1(VALU_DEP_4)
	v_add_f64_e32 v[90:91], v[134:135], v[132:133]
	v_fma_f64 v[132:133], v[60:61], s[12:13], v[232:233]
	v_add_f64_e32 v[120:121], v[164:165], v[120:121]
	v_fma_f64 v[164:165], v[172:173], s[12:13], v[158:159]
	s_delay_alu instid0(VALU_DEP_3) | instskip(NEXT) | instid1(VALU_DEP_2)
	v_add_f64_e32 v[86:87], v[132:133], v[86:87]
	v_add_f64_e32 v[122:123], v[164:165], v[122:123]
	s_delay_alu instid0(VALU_DEP_2) | instskip(SKIP_1) | instid1(VALU_DEP_1)
	v_add_f64_e32 v[86:87], v[128:129], v[86:87]
	v_fma_f64 v[128:129], v[92:93], s[14:15], -v[234:235]
	v_add_f64_e32 v[84:85], v[128:129], v[84:85]
	v_fma_f64 v[128:129], v[96:97], s[0:1], v[236:237]
	s_delay_alu instid0(VALU_DEP_1) | instskip(SKIP_1) | instid1(VALU_DEP_1)
	v_add_f64_e32 v[86:87], v[128:129], v[86:87]
	v_fma_f64 v[128:129], v[148:149], s[0:1], -v[238:239]
	v_add_f64_e32 v[84:85], v[128:129], v[84:85]
	v_fma_f64 v[128:129], v[154:155], s[16:17], v[240:241]
	s_delay_alu instid0(VALU_DEP_1) | instskip(SKIP_1) | instid1(VALU_DEP_1)
	v_add_f64_e32 v[86:87], v[128:129], v[86:87]
	v_fma_f64 v[128:129], v[160:161], s[16:17], -v[242:243]
	v_add_f64_e32 v[128:129], v[128:129], v[84:85]
	v_fma_f64 v[84:85], v[166:167], s[8:9], v[244:245]
	s_delay_alu instid0(VALU_DEP_1) | instskip(NEXT) | instid1(VALU_DEP_3)
	v_add_f64_e32 v[84:85], v[84:85], v[86:87]
	v_add_f64_e32 v[86:87], v[130:131], v[128:129]
	v_fma_f64 v[128:129], v[60:61], s[6:7], v[216:217]
	s_delay_alu instid0(VALU_DEP_1) | instskip(NEXT) | instid1(VALU_DEP_1)
	v_add_f64_e32 v[80:81], v[128:129], v[80:81]
	v_add_f64_e32 v[80:81], v[124:125], v[80:81]
	v_fma_f64 v[124:125], v[92:93], s[16:17], -v[218:219]
	s_delay_alu instid0(VALU_DEP_1) | instskip(SKIP_1) | instid1(VALU_DEP_1)
	v_add_f64_e32 v[76:77], v[124:125], v[76:77]
	v_fma_f64 v[124:125], v[96:97], s[12:13], v[220:221]
	v_add_f64_e32 v[80:81], v[124:125], v[80:81]
	v_fma_f64 v[124:125], v[148:149], s[12:13], -v[222:223]
	s_delay_alu instid0(VALU_DEP_1) | instskip(SKIP_1) | instid1(VALU_DEP_1)
	v_add_f64_e32 v[76:77], v[124:125], v[76:77]
	v_fma_f64 v[124:125], v[154:155], s[0:1], v[224:225]
	v_add_f64_e32 v[80:81], v[124:125], v[80:81]
	v_fma_f64 v[124:125], v[160:161], s[0:1], -v[226:227]
	s_delay_alu instid0(VALU_DEP_1) | instskip(SKIP_1) | instid1(VALU_DEP_2)
	v_add_f64_e32 v[76:77], v[124:125], v[76:77]
	v_fma_f64 v[124:125], v[166:167], s[14:15], v[228:229]
	v_add_f64_e32 v[126:127], v[126:127], v[76:77]
	v_fma_f64 v[76:77], v[60:61], s[0:1], v[196:197]
	s_delay_alu instid0(VALU_DEP_3) | instskip(SKIP_1) | instid1(VALU_DEP_3)
	v_add_f64_e32 v[124:125], v[124:125], v[80:81]
	v_fma_f64 v[80:81], v[172:173], s[6:7], -v[214:215]
	v_add_f64_e32 v[70:71], v[76:77], v[70:71]
	v_fma_f64 v[76:77], v[72:73], s[0:1], -v[198:199]
	s_delay_alu instid0(VALU_DEP_1) | instskip(SKIP_1) | instid1(VALU_DEP_1)
	v_add_f64_e32 v[68:69], v[76:77], v[68:69]
	v_fma_f64 v[76:77], v[78:79], s[8:9], v[200:201]
	v_add_f64_e32 v[70:71], v[76:77], v[70:71]
	v_fma_f64 v[76:77], v[92:93], s[8:9], -v[202:203]
	s_delay_alu instid0(VALU_DEP_1) | instskip(SKIP_1) | instid1(VALU_DEP_1)
	v_add_f64_e32 v[68:69], v[76:77], v[68:69]
	v_fma_f64 v[76:77], v[96:97], s[16:17], v[204:205]
	;; [unrolled: 5-line block ×4, first 2 shown]
	v_add_f64_e32 v[68:69], v[68:69], v[70:71]
	s_delay_alu instid0(VALU_DEP_3)
	v_add_f64_e32 v[70:71], v[80:81], v[76:77]
	v_fma_f64 v[76:77], v[60:61], s[8:9], v[176:177]
	v_fma_f64 v[60:61], v[60:61], s[14:15], -v[62:63]
	v_fma_f64 v[62:63], v[72:73], s[14:15], v[74:75]
	v_fma_f64 v[74:75], v[92:93], s[12:13], v[94:95]
	v_fma_f64 v[80:81], v[172:173], s[16:17], -v[194:195]
	v_add_f64_e32 v[58:59], v[76:77], v[58:59]
	v_fma_f64 v[76:77], v[72:73], s[8:9], -v[178:179]
	v_fma_f64 v[72:73], v[78:79], s[12:13], -v[82:83]
	v_add_f64_e32 v[52:53], v[60:61], v[52:53]
	v_add_f64_e32 v[54:55], v[62:63], v[54:55]
	v_fma_f64 v[60:61], v[96:97], s[8:9], -v[98:99]
	v_fma_f64 v[62:63], v[148:149], s[8:9], v[150:151]
	v_add_f64_e32 v[56:57], v[76:77], v[56:57]
	v_fma_f64 v[76:77], v[78:79], s[0:1], v[180:181]
	v_add_f64_e32 v[52:53], v[72:73], v[52:53]
	v_add_f64_e32 v[54:55], v[74:75], v[54:55]
	v_fma_f64 v[72:73], v[154:155], s[6:7], -v[156:157]
	v_fma_f64 v[74:75], v[160:161], s[6:7], v[162:163]
	v_add_f64_e32 v[58:59], v[76:77], v[58:59]
	v_fma_f64 v[76:77], v[92:93], s[0:1], -v[182:183]
	v_add_f64_e32 v[52:53], v[60:61], v[52:53]
	v_add_f64_e32 v[54:55], v[62:63], v[54:55]
	v_fma_f64 v[60:61], v[166:167], s[0:1], -v[168:169]
	v_fma_f64 v[62:63], v[172:173], s[0:1], v[174:175]
	v_cmp_gt_u32_e64 s0, 13, v100
	v_add_f64_e32 v[56:57], v[76:77], v[56:57]
	v_fma_f64 v[76:77], v[96:97], s[6:7], v[184:185]
	v_add_f64_e32 v[52:53], v[72:73], v[52:53]
	v_add_f64_e32 v[54:55], v[74:75], v[54:55]
	s_delay_alu instid0(VALU_DEP_3) | instskip(SKIP_1) | instid1(VALU_DEP_4)
	v_add_f64_e32 v[58:59], v[76:77], v[58:59]
	v_fma_f64 v[76:77], v[148:149], s[6:7], -v[186:187]
	v_add_f64_e32 v[52:53], v[60:61], v[52:53]
	s_delay_alu instid0(VALU_DEP_4) | instskip(NEXT) | instid1(VALU_DEP_3)
	v_add_f64_e32 v[54:55], v[62:63], v[54:55]
	v_add_f64_e32 v[56:57], v[76:77], v[56:57]
	v_fma_f64 v[76:77], v[154:155], s[12:13], v[188:189]
	s_delay_alu instid0(VALU_DEP_1) | instskip(SKIP_1) | instid1(VALU_DEP_1)
	v_add_f64_e32 v[58:59], v[76:77], v[58:59]
	v_fma_f64 v[76:77], v[160:161], s[12:13], -v[190:191]
	v_add_f64_e32 v[76:77], v[76:77], v[56:57]
	v_fma_f64 v[56:57], v[166:167], s[16:17], v[192:193]
	s_delay_alu instid0(VALU_DEP_1) | instskip(NEXT) | instid1(VALU_DEP_3)
	v_add_f64_e32 v[56:57], v[56:57], v[58:59]
	v_add_f64_e32 v[58:59], v[80:81], v[76:77]
	ds_store_b128 v4, v[116:119] offset:1040
	ds_store_b128 v4, v[120:123] offset:1248
	ds_store_b128 v4, v[88:91] offset:1456
	ds_store_b128 v4, v[84:87] offset:1664
	ds_store_b128 v4, v[124:127] offset:1872
	ds_store_b128 v4, v[68:71] offset:2080
	ds_store_b128 v4, v[56:59] offset:2288
	ds_store_b128 v4, v[0:3] offset:2496
	ds_store_b128 v4, v[52:55] offset:208
	ds_store_b128 v4, v[6:9]
	global_wb scope:SCOPE_SE
	s_wait_dscnt 0x0
	s_barrier_signal -1
	s_barrier_wait -1
	global_inv scope:SCOPE_SE
	ds_load_b128 v[20:23], v101
	ds_load_b128 v[16:19], v101 offset:832
	ds_load_b128 v[44:47], v101 offset:5408
	;; [unrolled: 1-line block ×11, first 2 shown]
                                        ; implicit-def: $vgpr6_vgpr7
	s_and_saveexec_b32 s1, s0
	s_cbranch_execz .LBB0_15
; %bb.14:
	ds_load_b128 v[0:3], v101 offset:2496
	ds_load_b128 v[4:7], v101 offset:5200
	;; [unrolled: 1-line block ×4, first 2 shown]
.LBB0_15:
	s_wait_alu 0xfffe
	s_or_b32 exec_lo, exec_lo, s1
	s_and_saveexec_b32 s1, vcc_lo
	s_cbranch_execz .LBB0_18
; %bb.16:
	v_dual_mov_b32 v69, 0 :: v_dual_add_nc_u32 v68, 0x68, v100
	v_mul_u32_u24_e32 v70, 3, v100
	v_lshlrev_b64_e32 v[64:65], 4, v[64:65]
	s_delay_alu instid0(VALU_DEP_3) | instskip(SKIP_1) | instid1(VALU_DEP_4)
	v_mul_u32_u24_e32 v71, 3, v68
	v_mad_u32_u24 v68, v68, 3, 0xffffff64
	v_lshlrev_b32_e32 v78, 4, v70
	s_delay_alu instid0(VALU_DEP_3) | instskip(NEXT) | instid1(VALU_DEP_3)
	v_lshlrev_b32_e32 v92, 4, v71
	v_lshlrev_b64_e32 v[90:91], 4, v[68:69]
	s_clause 0x4
	global_load_b128 v[70:73], v78, s[4:5] offset:2528
	global_load_b128 v[74:77], v78, s[4:5] offset:2512
	;; [unrolled: 1-line block ×5, first 2 shown]
	v_mul_lo_u32 v68, s3, v66
	v_add_co_u32 v98, vcc_lo, s4, v90
	s_wait_alu 0xfffd
	v_add_co_ci_u32_e32 v99, vcc_lo, s5, v91, vcc_lo
	s_clause 0x3
	global_load_b128 v[90:93], v92, s[4:5] offset:2528
	global_load_b128 v[94:97], v[98:99], off offset:2512
	global_load_b128 v[101:104], v[98:99], off offset:2496
	global_load_b128 v[105:108], v[98:99], off offset:2528
	s_wait_loadcnt_dscnt 0x803
	v_mul_f64_e32 v[111:112], v[62:63], v[72:73]
	s_wait_loadcnt 0x7
	v_mul_f64_e32 v[98:99], v[46:47], v[74:75]
	s_wait_loadcnt 0x6
	v_mul_f64_e32 v[109:110], v[50:51], v[80:81]
	v_mul_f64_e32 v[46:47], v[46:47], v[76:77]
	;; [unrolled: 1-line block ×4, first 2 shown]
	s_wait_loadcnt_dscnt 0x502
	v_mul_f64_e32 v[113:114], v[54:55], v[82:83]
	v_mul_f64_e32 v[54:55], v[54:55], v[84:85]
	s_wait_loadcnt 0x4
	v_mul_f64_e32 v[115:116], v[42:43], v[88:89]
	v_mul_f64_e32 v[88:89], v[40:41], v[88:89]
	s_wait_loadcnt_dscnt 0x300
	v_mul_f64_e32 v[117:118], v[58:59], v[92:93]
	v_mul_f64_e32 v[92:93], v[56:57], v[92:93]
	s_wait_loadcnt 0x2
	v_mul_f64_e32 v[119:120], v[30:31], v[94:95]
	s_wait_loadcnt 0x1
	v_mul_f64_e32 v[121:122], v[34:35], v[103:104]
	v_mul_f64_e32 v[103:104], v[32:33], v[103:104]
	s_wait_loadcnt 0x0
	v_mul_f64_e32 v[123:124], v[36:37], v[107:108]
	v_mul_f64_e32 v[30:31], v[30:31], v[96:97]
	;; [unrolled: 1-line block ×3, first 2 shown]
	v_fma_f64 v[60:61], v[60:61], v[70:71], -v[111:112]
	v_fma_f64 v[76:77], v[44:45], v[76:77], v[98:99]
	v_fma_f64 v[48:49], v[48:49], v[78:79], -v[109:110]
	v_fma_f64 v[44:45], v[44:45], v[74:75], -v[46:47]
	v_fma_f64 v[46:47], v[50:51], v[78:79], v[80:81]
	v_fma_f64 v[50:51], v[62:63], v[70:71], v[72:73]
	;; [unrolled: 1-line block ×3, first 2 shown]
	v_fma_f64 v[52:53], v[52:53], v[82:83], -v[54:55]
	v_fma_f64 v[40:41], v[40:41], v[86:87], -v[115:116]
	v_fma_f64 v[42:43], v[42:43], v[86:87], v[88:89]
	v_mul_lo_u32 v85, s2, v67
	v_add_nc_u32_e32 v84, 52, v100
	v_fma_f64 v[56:57], v[56:57], v[90:91], -v[117:118]
	v_fma_f64 v[54:55], v[58:59], v[90:91], v[92:93]
	v_fma_f64 v[58:59], v[28:29], v[96:97], v[119:120]
	v_fma_f64 v[32:33], v[32:33], v[101:102], -v[121:122]
	v_fma_f64 v[34:35], v[34:35], v[101:102], v[103:104]
	v_fma_f64 v[38:39], v[38:39], v[105:106], v[123:124]
	v_fma_f64 v[28:29], v[28:29], v[94:95], -v[30:31]
	v_fma_f64 v[30:31], v[36:37], v[105:106], -v[107:108]
	v_mul_hi_u32 v87, 0x60f25deb, v84
	v_add_nc_u32_e32 v86, 0x68, v100
	v_add_f64_e64 v[70:71], v[22:23], -v[76:77]
	v_add_f64_e64 v[44:45], v[20:21], -v[44:45]
	;; [unrolled: 1-line block ×12, first 2 shown]
	v_mad_co_u64_u32 v[30:31], null, s2, v66, 0
	s_delay_alu instid0(VALU_DEP_1) | instskip(SKIP_3) | instid1(VALU_DEP_4)
	v_add3_u32 v31, v31, v85, v68
	v_fma_f64 v[66:67], v[22:23], 2.0, -v[70:71]
	v_lshrrev_b32_e32 v22, 6, v87
	v_fma_f64 v[72:73], v[20:21], 2.0, -v[44:45]
	v_lshlrev_b64_e32 v[20:21], 4, v[30:31]
	v_fma_f64 v[46:47], v[46:47], 2.0, -v[36:37]
	v_fma_f64 v[48:49], v[48:49], 2.0, -v[50:51]
	;; [unrolled: 1-line block ×4, first 2 shown]
	v_mul_lo_u32 v24, 0xa9, v22
	v_add_co_u32 v88, s1, s10, v20
	v_fma_f64 v[40:41], v[40:41], 2.0, -v[56:57]
	v_fma_f64 v[42:43], v[42:43], 2.0, -v[54:55]
	;; [unrolled: 1-line block ×3, first 2 shown]
	s_wait_alu 0xf1fe
	v_add_co_ci_u32_e64 v89, s1, s11, v21, s1
	v_fma_f64 v[18:19], v[34:35], 2.0, -v[38:39]
	v_fma_f64 v[80:81], v[16:17], 2.0, -v[62:63]
	;; [unrolled: 1-line block ×3, first 2 shown]
	v_mul_hi_u32 v16, 0x60f25deb, v100
	v_mul_hi_u32 v17, 0x60f25deb, v86
	v_add_f64_e32 v[30:31], v[58:59], v[28:29]
	v_add_f64_e64 v[20:21], v[44:45], -v[36:37]
	v_add_f64_e64 v[28:29], v[62:63], -v[38:39]
	v_add_f64_e32 v[26:27], v[60:61], v[56:57]
	v_lshrrev_b32_e32 v23, 6, v16
	v_lshrrev_b32_e32 v87, 6, v17
	v_sub_nc_u32_e32 v17, v84, v24
	v_add_nc_u32_e32 v16, 0x9c, v100
	s_delay_alu instid0(VALU_DEP_4) | instskip(NEXT) | instid1(VALU_DEP_4)
	v_mul_lo_u32 v23, 0xa9, v23
	v_mul_lo_u32 v25, 0xa9, v87
	s_delay_alu instid0(VALU_DEP_3) | instskip(NEXT) | instid1(VALU_DEP_3)
	v_cmp_gt_u32_e32 vcc_lo, 0xa9, v16
	v_sub_nc_u32_e32 v90, v100, v23
	s_delay_alu instid0(VALU_DEP_3)
	v_sub_nc_u32_e32 v68, v86, v25
	v_add_f64_e64 v[34:35], v[66:67], -v[46:47]
	v_add_f64_e64 v[32:33], v[72:73], -v[48:49]
	;; [unrolled: 1-line block ×5, first 2 shown]
	v_mad_co_u64_u32 v[84:85], null, 0x2a4, v22, v[17:18]
	v_add_f64_e32 v[22:23], v[70:71], v[50:51]
	v_add_f64_e64 v[42:43], v[78:79], -v[18:19]
	v_add_f64_e64 v[40:41], v[80:81], -v[82:83]
	v_mov_b32_e32 v85, v69
	v_mad_co_u64_u32 v[82:83], null, 0x2a4, v87, v[68:69]
	v_mov_b32_e32 v83, v69
	v_add_co_u32 v18, s1, v88, v64
	v_lshlrev_b32_e32 v17, 4, v90
	s_wait_alu 0xf1ff
	v_add_co_ci_u32_e64 v19, s1, v89, v65, s1
	v_lshlrev_b64_e32 v[46:47], 4, v[84:85]
	v_lshlrev_b64_e32 v[48:49], 4, v[82:83]
	v_add_co_u32 v85, s1, v18, v17
	v_add_nc_u32_e32 v68, 0xa9, v84
	s_wait_alu 0xf1ff
	v_add_co_ci_u32_e64 v86, s1, 0, v19, s1
	v_add_co_u32 v89, s1, v18, v46
	v_fma_f64 v[54:55], v[58:59], 2.0, -v[30:31]
	s_wait_alu 0xf1ff
	v_add_co_ci_u32_e64 v90, s1, v19, v47, s1
	v_fma_f64 v[58:59], v[66:67], 2.0, -v[34:35]
	v_fma_f64 v[56:57], v[72:73], 2.0, -v[32:33]
	v_fma_f64 v[44:45], v[44:45], 2.0, -v[20:21]
	v_lshlrev_b64_e32 v[87:88], 4, v[68:69]
	v_add_nc_u32_e32 v68, 0x152, v84
	v_add_co_u32 v91, s1, v18, v48
	s_wait_alu 0xf1ff
	v_add_co_ci_u32_e64 v92, s1, v19, v49, s1
	v_fma_f64 v[48:49], v[52:53], 2.0, -v[24:25]
	v_fma_f64 v[52:53], v[62:63], 2.0, -v[28:29]
	;; [unrolled: 1-line block ×8, first 2 shown]
	v_lshlrev_b64_e32 v[93:94], 4, v[68:69]
	v_add_nc_u32_e32 v68, 0x1fb, v84
	v_add_co_u32 v70, s1, v18, v87
	s_wait_alu 0xf1ff
	v_add_co_ci_u32_e64 v71, s1, v19, v88, s1
	s_delay_alu instid0(VALU_DEP_3) | instskip(SKIP_4) | instid1(VALU_DEP_3)
	v_lshlrev_b64_e32 v[72:73], 4, v[68:69]
	v_add_nc_u32_e32 v68, 0xa9, v82
	v_add_co_u32 v74, s1, v18, v93
	s_wait_alu 0xf1ff
	v_add_co_ci_u32_e64 v75, s1, v19, v94, s1
	v_lshlrev_b64_e32 v[76:77], 4, v[68:69]
	v_add_nc_u32_e32 v68, 0x152, v82
	v_add_co_u32 v72, s1, v18, v72
	s_wait_alu 0xf1ff
	v_add_co_ci_u32_e64 v73, s1, v19, v73, s1
	s_delay_alu instid0(VALU_DEP_3) | instskip(SKIP_4) | instid1(VALU_DEP_3)
	v_lshlrev_b64_e32 v[78:79], 4, v[68:69]
	v_add_nc_u32_e32 v68, 0x1fb, v82
	v_add_co_u32 v76, s1, v18, v76
	s_wait_alu 0xf1ff
	v_add_co_ci_u32_e64 v77, s1, v19, v77, s1
	v_lshlrev_b64_e32 v[80:81], 4, v[68:69]
	v_add_co_u32 v78, s1, v18, v78
	s_wait_alu 0xf1ff
	v_add_co_ci_u32_e64 v79, s1, v19, v79, s1
	s_delay_alu instid0(VALU_DEP_3)
	v_add_co_u32 v80, s1, v18, v80
	s_wait_alu 0xf1ff
	v_add_co_ci_u32_e64 v81, s1, v19, v81, s1
	s_clause 0xb
	global_store_b128 v[85:86], v[32:35], off offset:5408
	global_store_b128 v[85:86], v[20:23], off offset:8112
	global_store_b128 v[85:86], v[56:59], off
	global_store_b128 v[85:86], v[44:47], off offset:2704
	global_store_b128 v[74:75], v[40:43], off
	global_store_b128 v[72:73], v[28:31], off
	;; [unrolled: 1-line block ×8, first 2 shown]
	s_and_b32 exec_lo, exec_lo, vcc_lo
	s_cbranch_execz .LBB0_18
; %bb.17:
	v_cndmask_b32_e64 v17, -13, 0x9c, s0
	s_delay_alu instid0(VALU_DEP_1) | instskip(NEXT) | instid1(VALU_DEP_1)
	v_add_nc_u32_e32 v17, v100, v17
	v_mul_i32_i24_e32 v68, 3, v17
	v_mov_b32_e32 v17, v69
	s_delay_alu instid0(VALU_DEP_2) | instskip(SKIP_1) | instid1(VALU_DEP_3)
	v_lshlrev_b64_e32 v[20:21], 4, v[68:69]
	v_add_nc_u32_e32 v68, 0x145, v100
	v_lshlrev_b64_e32 v[16:17], 4, v[16:17]
	s_delay_alu instid0(VALU_DEP_3) | instskip(SKIP_1) | instid1(VALU_DEP_4)
	v_add_co_u32 v28, vcc_lo, s4, v20
	s_wait_alu 0xfffd
	v_add_co_ci_u32_e32 v29, vcc_lo, s5, v21, vcc_lo
	s_delay_alu instid0(VALU_DEP_3)
	v_add_co_u32 v16, vcc_lo, v18, v16
	s_wait_alu 0xfffd
	v_add_co_ci_u32_e32 v17, vcc_lo, v19, v17, vcc_lo
	s_clause 0x2
	global_load_b128 v[20:23], v[28:29], off offset:2496
	global_load_b128 v[24:27], v[28:29], off offset:2512
	;; [unrolled: 1-line block ×3, first 2 shown]
	s_wait_loadcnt 0x2
	v_mul_f64_e32 v[32:33], v[6:7], v[22:23]
	v_mul_f64_e32 v[22:23], v[4:5], v[22:23]
	s_wait_loadcnt 0x1
	v_mul_f64_e32 v[34:35], v[10:11], v[26:27]
	v_mul_f64_e32 v[26:27], v[8:9], v[26:27]
	;; [unrolled: 3-line block ×3, first 2 shown]
	v_fma_f64 v[4:5], v[4:5], v[20:21], -v[32:33]
	v_fma_f64 v[6:7], v[6:7], v[20:21], v[22:23]
	v_fma_f64 v[8:9], v[8:9], v[24:25], -v[34:35]
	v_fma_f64 v[10:11], v[10:11], v[24:25], v[26:27]
	;; [unrolled: 2-line block ×3, first 2 shown]
	s_delay_alu instid0(VALU_DEP_4) | instskip(NEXT) | instid1(VALU_DEP_4)
	v_add_f64_e64 v[8:9], v[0:1], -v[8:9]
	v_add_f64_e64 v[10:11], v[2:3], -v[10:11]
	s_delay_alu instid0(VALU_DEP_4) | instskip(NEXT) | instid1(VALU_DEP_4)
	v_add_f64_e64 v[12:13], v[4:5], -v[12:13]
	v_add_f64_e64 v[14:15], v[6:7], -v[14:15]
	s_delay_alu instid0(VALU_DEP_4) | instskip(NEXT) | instid1(VALU_DEP_4)
	v_fma_f64 v[20:21], v[0:1], 2.0, -v[8:9]
	v_fma_f64 v[22:23], v[2:3], 2.0, -v[10:11]
	s_delay_alu instid0(VALU_DEP_4) | instskip(NEXT) | instid1(VALU_DEP_4)
	v_fma_f64 v[2:3], v[4:5], 2.0, -v[12:13]
	v_fma_f64 v[6:7], v[6:7], 2.0, -v[14:15]
	v_add_f64_e64 v[0:1], v[8:9], -v[14:15]
	s_delay_alu instid0(VALU_DEP_3) | instskip(NEXT) | instid1(VALU_DEP_3)
	v_add_f64_e64 v[4:5], v[20:21], -v[2:3]
	v_add_f64_e64 v[6:7], v[22:23], -v[6:7]
	v_add_f64_e32 v[2:3], v[10:11], v[12:13]
	s_delay_alu instid0(VALU_DEP_4) | instskip(NEXT) | instid1(VALU_DEP_4)
	v_fma_f64 v[8:9], v[8:9], 2.0, -v[0:1]
	v_fma_f64 v[12:13], v[20:21], 2.0, -v[4:5]
	s_delay_alu instid0(VALU_DEP_4) | instskip(NEXT) | instid1(VALU_DEP_4)
	v_fma_f64 v[14:15], v[22:23], 2.0, -v[6:7]
	v_fma_f64 v[10:11], v[10:11], 2.0, -v[2:3]
	v_lshlrev_b64_e32 v[20:21], 4, v[68:69]
	v_add_nc_u32_e32 v68, 0x1ee, v100
	s_delay_alu instid0(VALU_DEP_1) | instskip(SKIP_1) | instid1(VALU_DEP_4)
	v_lshlrev_b64_e32 v[22:23], 4, v[68:69]
	v_add_nc_u32_e32 v68, 0x297, v100
	v_add_co_u32 v20, vcc_lo, v18, v20
	s_wait_alu 0xfffd
	v_add_co_ci_u32_e32 v21, vcc_lo, v19, v21, vcc_lo
	s_delay_alu instid0(VALU_DEP_3) | instskip(SKIP_3) | instid1(VALU_DEP_3)
	v_lshlrev_b64_e32 v[24:25], 4, v[68:69]
	v_add_co_u32 v22, vcc_lo, v18, v22
	s_wait_alu 0xfffd
	v_add_co_ci_u32_e32 v23, vcc_lo, v19, v23, vcc_lo
	v_add_co_u32 v18, vcc_lo, v18, v24
	s_wait_alu 0xfffd
	v_add_co_ci_u32_e32 v19, vcc_lo, v19, v25, vcc_lo
	s_clause 0x3
	global_store_b128 v[16:17], v[12:15], off
	global_store_b128 v[20:21], v[8:11], off
	;; [unrolled: 1-line block ×4, first 2 shown]
.LBB0_18:
	s_nop 0
	s_sendmsg sendmsg(MSG_DEALLOC_VGPRS)
	s_endpgm
	.section	.rodata,"a",@progbits
	.p2align	6, 0x0
	.amdhsa_kernel fft_rtc_fwd_len676_factors_13_13_4_wgs_52_tpt_52_dp_op_CI_CI_unitstride_sbrr_dirReg
		.amdhsa_group_segment_fixed_size 0
		.amdhsa_private_segment_fixed_size 0
		.amdhsa_kernarg_size 104
		.amdhsa_user_sgpr_count 2
		.amdhsa_user_sgpr_dispatch_ptr 0
		.amdhsa_user_sgpr_queue_ptr 0
		.amdhsa_user_sgpr_kernarg_segment_ptr 1
		.amdhsa_user_sgpr_dispatch_id 0
		.amdhsa_user_sgpr_private_segment_size 0
		.amdhsa_wavefront_size32 1
		.amdhsa_uses_dynamic_stack 0
		.amdhsa_enable_private_segment 0
		.amdhsa_system_sgpr_workgroup_id_x 1
		.amdhsa_system_sgpr_workgroup_id_y 0
		.amdhsa_system_sgpr_workgroup_id_z 0
		.amdhsa_system_sgpr_workgroup_info 0
		.amdhsa_system_vgpr_workitem_id 0
		.amdhsa_next_free_vgpr 248
		.amdhsa_next_free_sgpr 44
		.amdhsa_reserve_vcc 1
		.amdhsa_float_round_mode_32 0
		.amdhsa_float_round_mode_16_64 0
		.amdhsa_float_denorm_mode_32 3
		.amdhsa_float_denorm_mode_16_64 3
		.amdhsa_fp16_overflow 0
		.amdhsa_workgroup_processor_mode 1
		.amdhsa_memory_ordered 1
		.amdhsa_forward_progress 0
		.amdhsa_round_robin_scheduling 0
		.amdhsa_exception_fp_ieee_invalid_op 0
		.amdhsa_exception_fp_denorm_src 0
		.amdhsa_exception_fp_ieee_div_zero 0
		.amdhsa_exception_fp_ieee_overflow 0
		.amdhsa_exception_fp_ieee_underflow 0
		.amdhsa_exception_fp_ieee_inexact 0
		.amdhsa_exception_int_div_zero 0
	.end_amdhsa_kernel
	.text
.Lfunc_end0:
	.size	fft_rtc_fwd_len676_factors_13_13_4_wgs_52_tpt_52_dp_op_CI_CI_unitstride_sbrr_dirReg, .Lfunc_end0-fft_rtc_fwd_len676_factors_13_13_4_wgs_52_tpt_52_dp_op_CI_CI_unitstride_sbrr_dirReg
                                        ; -- End function
	.section	.AMDGPU.csdata,"",@progbits
; Kernel info:
; codeLenInByte = 10256
; NumSgprs: 46
; NumVgprs: 248
; ScratchSize: 0
; MemoryBound: 1
; FloatMode: 240
; IeeeMode: 1
; LDSByteSize: 0 bytes/workgroup (compile time only)
; SGPRBlocks: 5
; VGPRBlocks: 30
; NumSGPRsForWavesPerEU: 46
; NumVGPRsForWavesPerEU: 248
; Occupancy: 5
; WaveLimiterHint : 1
; COMPUTE_PGM_RSRC2:SCRATCH_EN: 0
; COMPUTE_PGM_RSRC2:USER_SGPR: 2
; COMPUTE_PGM_RSRC2:TRAP_HANDLER: 0
; COMPUTE_PGM_RSRC2:TGID_X_EN: 1
; COMPUTE_PGM_RSRC2:TGID_Y_EN: 0
; COMPUTE_PGM_RSRC2:TGID_Z_EN: 0
; COMPUTE_PGM_RSRC2:TIDIG_COMP_CNT: 0
	.text
	.p2alignl 7, 3214868480
	.fill 96, 4, 3214868480
	.type	__hip_cuid_a429d07413a6ee1c,@object ; @__hip_cuid_a429d07413a6ee1c
	.section	.bss,"aw",@nobits
	.globl	__hip_cuid_a429d07413a6ee1c
__hip_cuid_a429d07413a6ee1c:
	.byte	0                               ; 0x0
	.size	__hip_cuid_a429d07413a6ee1c, 1

	.ident	"AMD clang version 19.0.0git (https://github.com/RadeonOpenCompute/llvm-project roc-6.4.0 25133 c7fe45cf4b819c5991fe208aaa96edf142730f1d)"
	.section	".note.GNU-stack","",@progbits
	.addrsig
	.addrsig_sym __hip_cuid_a429d07413a6ee1c
	.amdgpu_metadata
---
amdhsa.kernels:
  - .args:
      - .actual_access:  read_only
        .address_space:  global
        .offset:         0
        .size:           8
        .value_kind:     global_buffer
      - .offset:         8
        .size:           8
        .value_kind:     by_value
      - .actual_access:  read_only
        .address_space:  global
        .offset:         16
        .size:           8
        .value_kind:     global_buffer
      - .actual_access:  read_only
        .address_space:  global
        .offset:         24
        .size:           8
        .value_kind:     global_buffer
      - .actual_access:  read_only
        .address_space:  global
        .offset:         32
        .size:           8
        .value_kind:     global_buffer
      - .offset:         40
        .size:           8
        .value_kind:     by_value
      - .actual_access:  read_only
        .address_space:  global
        .offset:         48
        .size:           8
        .value_kind:     global_buffer
      - .actual_access:  read_only
        .address_space:  global
        .offset:         56
        .size:           8
        .value_kind:     global_buffer
      - .offset:         64
        .size:           4
        .value_kind:     by_value
      - .actual_access:  read_only
        .address_space:  global
        .offset:         72
        .size:           8
        .value_kind:     global_buffer
      - .actual_access:  read_only
        .address_space:  global
        .offset:         80
        .size:           8
        .value_kind:     global_buffer
      - .actual_access:  read_only
        .address_space:  global
        .offset:         88
        .size:           8
        .value_kind:     global_buffer
      - .actual_access:  write_only
        .address_space:  global
        .offset:         96
        .size:           8
        .value_kind:     global_buffer
    .group_segment_fixed_size: 0
    .kernarg_segment_align: 8
    .kernarg_segment_size: 104
    .language:       OpenCL C
    .language_version:
      - 2
      - 0
    .max_flat_workgroup_size: 52
    .name:           fft_rtc_fwd_len676_factors_13_13_4_wgs_52_tpt_52_dp_op_CI_CI_unitstride_sbrr_dirReg
    .private_segment_fixed_size: 0
    .sgpr_count:     46
    .sgpr_spill_count: 0
    .symbol:         fft_rtc_fwd_len676_factors_13_13_4_wgs_52_tpt_52_dp_op_CI_CI_unitstride_sbrr_dirReg.kd
    .uniform_work_group_size: 1
    .uses_dynamic_stack: false
    .vgpr_count:     248
    .vgpr_spill_count: 0
    .wavefront_size: 32
    .workgroup_processor_mode: 1
amdhsa.target:   amdgcn-amd-amdhsa--gfx1201
amdhsa.version:
  - 1
  - 2
...

	.end_amdgpu_metadata
